;; amdgpu-corpus repo=ROCm/rocFFT kind=compiled arch=gfx1201 opt=O3
	.text
	.amdgcn_target "amdgcn-amd-amdhsa--gfx1201"
	.amdhsa_code_object_version 6
	.protected	fft_rtc_fwd_len1728_factors_3_6_6_16_wgs_108_tpt_108_halfLds_dp_ip_CI_sbrr_dirReg ; -- Begin function fft_rtc_fwd_len1728_factors_3_6_6_16_wgs_108_tpt_108_halfLds_dp_ip_CI_sbrr_dirReg
	.globl	fft_rtc_fwd_len1728_factors_3_6_6_16_wgs_108_tpt_108_halfLds_dp_ip_CI_sbrr_dirReg
	.p2align	8
	.type	fft_rtc_fwd_len1728_factors_3_6_6_16_wgs_108_tpt_108_halfLds_dp_ip_CI_sbrr_dirReg,@function
fft_rtc_fwd_len1728_factors_3_6_6_16_wgs_108_tpt_108_halfLds_dp_ip_CI_sbrr_dirReg: ; @fft_rtc_fwd_len1728_factors_3_6_6_16_wgs_108_tpt_108_halfLds_dp_ip_CI_sbrr_dirReg
; %bb.0:
	s_clause 0x2
	s_load_b64 s[12:13], s[0:1], 0x18
	s_load_b128 s[4:7], s[0:1], 0x0
	s_load_b64 s[10:11], s[0:1], 0x50
	v_mul_u32_u24_e32 v1, 0x25f, v0
	v_mov_b32_e32 v3, 0
	s_delay_alu instid0(VALU_DEP_2) | instskip(NEXT) | instid1(VALU_DEP_1)
	v_lshrrev_b32_e32 v1, 16, v1
	v_add_nc_u32_e32 v5, ttmp9, v1
	v_mov_b32_e32 v1, 0
	v_mov_b32_e32 v2, 0
	;; [unrolled: 1-line block ×3, first 2 shown]
	s_wait_kmcnt 0x0
	s_load_b64 s[8:9], s[12:13], 0x0
	v_cmp_lt_u64_e64 s2, s[6:7], 2
	s_delay_alu instid0(VALU_DEP_1)
	s_and_b32 vcc_lo, exec_lo, s2
	s_cbranch_vccnz .LBB0_8
; %bb.1:
	s_load_b64 s[2:3], s[0:1], 0x10
	v_mov_b32_e32 v1, 0
	v_mov_b32_e32 v2, 0
	s_add_nc_u64 s[14:15], s[12:13], 8
	s_mov_b64 s[16:17], 1
	s_wait_kmcnt 0x0
	s_add_nc_u64 s[18:19], s[2:3], 8
	s_mov_b32 s3, 0
.LBB0_2:                                ; =>This Inner Loop Header: Depth=1
	s_load_b64 s[20:21], s[18:19], 0x0
                                        ; implicit-def: $vgpr7_vgpr8
	s_mov_b32 s2, exec_lo
	s_wait_kmcnt 0x0
	v_or_b32_e32 v4, s21, v6
	s_delay_alu instid0(VALU_DEP_1)
	v_cmpx_ne_u64_e32 0, v[3:4]
	s_wait_alu 0xfffe
	s_xor_b32 s22, exec_lo, s2
	s_cbranch_execz .LBB0_4
; %bb.3:                                ;   in Loop: Header=BB0_2 Depth=1
	s_cvt_f32_u32 s2, s20
	s_cvt_f32_u32 s23, s21
	s_sub_nc_u64 s[26:27], 0, s[20:21]
	s_wait_alu 0xfffe
	s_delay_alu instid0(SALU_CYCLE_1) | instskip(SKIP_1) | instid1(SALU_CYCLE_2)
	s_fmamk_f32 s2, s23, 0x4f800000, s2
	s_wait_alu 0xfffe
	v_s_rcp_f32 s2, s2
	s_delay_alu instid0(TRANS32_DEP_1) | instskip(SKIP_1) | instid1(SALU_CYCLE_2)
	s_mul_f32 s2, s2, 0x5f7ffffc
	s_wait_alu 0xfffe
	s_mul_f32 s23, s2, 0x2f800000
	s_wait_alu 0xfffe
	s_delay_alu instid0(SALU_CYCLE_2) | instskip(SKIP_1) | instid1(SALU_CYCLE_2)
	s_trunc_f32 s23, s23
	s_wait_alu 0xfffe
	s_fmamk_f32 s2, s23, 0xcf800000, s2
	s_cvt_u32_f32 s25, s23
	s_wait_alu 0xfffe
	s_delay_alu instid0(SALU_CYCLE_1) | instskip(SKIP_1) | instid1(SALU_CYCLE_2)
	s_cvt_u32_f32 s24, s2
	s_wait_alu 0xfffe
	s_mul_u64 s[28:29], s[26:27], s[24:25]
	s_wait_alu 0xfffe
	s_mul_hi_u32 s31, s24, s29
	s_mul_i32 s30, s24, s29
	s_mul_hi_u32 s2, s24, s28
	s_mul_i32 s33, s25, s28
	s_wait_alu 0xfffe
	s_add_nc_u64 s[30:31], s[2:3], s[30:31]
	s_mul_hi_u32 s23, s25, s28
	s_mul_hi_u32 s34, s25, s29
	s_add_co_u32 s2, s30, s33
	s_wait_alu 0xfffe
	s_add_co_ci_u32 s2, s31, s23
	s_mul_i32 s28, s25, s29
	s_add_co_ci_u32 s29, s34, 0
	s_wait_alu 0xfffe
	s_add_nc_u64 s[28:29], s[2:3], s[28:29]
	s_wait_alu 0xfffe
	v_add_co_u32 v4, s2, s24, s28
	s_delay_alu instid0(VALU_DEP_1) | instskip(SKIP_1) | instid1(VALU_DEP_1)
	s_cmp_lg_u32 s2, 0
	s_add_co_ci_u32 s25, s25, s29
	v_readfirstlane_b32 s24, v4
	s_wait_alu 0xfffe
	s_delay_alu instid0(VALU_DEP_1)
	s_mul_u64 s[26:27], s[26:27], s[24:25]
	s_wait_alu 0xfffe
	s_mul_hi_u32 s29, s24, s27
	s_mul_i32 s28, s24, s27
	s_mul_hi_u32 s2, s24, s26
	s_mul_i32 s30, s25, s26
	s_wait_alu 0xfffe
	s_add_nc_u64 s[28:29], s[2:3], s[28:29]
	s_mul_hi_u32 s23, s25, s26
	s_mul_hi_u32 s24, s25, s27
	s_wait_alu 0xfffe
	s_add_co_u32 s2, s28, s30
	s_add_co_ci_u32 s2, s29, s23
	s_mul_i32 s26, s25, s27
	s_add_co_ci_u32 s27, s24, 0
	s_wait_alu 0xfffe
	s_add_nc_u64 s[26:27], s[2:3], s[26:27]
	s_wait_alu 0xfffe
	v_add_co_u32 v4, s2, v4, s26
	s_delay_alu instid0(VALU_DEP_1) | instskip(SKIP_1) | instid1(VALU_DEP_1)
	s_cmp_lg_u32 s2, 0
	s_add_co_ci_u32 s2, s25, s27
	v_mul_hi_u32 v13, v5, v4
	s_wait_alu 0xfffe
	v_mad_co_u64_u32 v[7:8], null, v5, s2, 0
	v_mad_co_u64_u32 v[9:10], null, v6, v4, 0
	;; [unrolled: 1-line block ×3, first 2 shown]
	s_delay_alu instid0(VALU_DEP_3) | instskip(SKIP_1) | instid1(VALU_DEP_4)
	v_add_co_u32 v4, vcc_lo, v13, v7
	s_wait_alu 0xfffd
	v_add_co_ci_u32_e32 v7, vcc_lo, 0, v8, vcc_lo
	s_delay_alu instid0(VALU_DEP_2) | instskip(SKIP_1) | instid1(VALU_DEP_2)
	v_add_co_u32 v4, vcc_lo, v4, v9
	s_wait_alu 0xfffd
	v_add_co_ci_u32_e32 v4, vcc_lo, v7, v10, vcc_lo
	s_wait_alu 0xfffd
	v_add_co_ci_u32_e32 v7, vcc_lo, 0, v12, vcc_lo
	s_delay_alu instid0(VALU_DEP_2) | instskip(SKIP_1) | instid1(VALU_DEP_2)
	v_add_co_u32 v4, vcc_lo, v4, v11
	s_wait_alu 0xfffd
	v_add_co_ci_u32_e32 v9, vcc_lo, 0, v7, vcc_lo
	s_delay_alu instid0(VALU_DEP_2) | instskip(SKIP_1) | instid1(VALU_DEP_3)
	v_mul_lo_u32 v10, s21, v4
	v_mad_co_u64_u32 v[7:8], null, s20, v4, 0
	v_mul_lo_u32 v11, s20, v9
	s_delay_alu instid0(VALU_DEP_2) | instskip(NEXT) | instid1(VALU_DEP_2)
	v_sub_co_u32 v7, vcc_lo, v5, v7
	v_add3_u32 v8, v8, v11, v10
	s_delay_alu instid0(VALU_DEP_1) | instskip(SKIP_1) | instid1(VALU_DEP_1)
	v_sub_nc_u32_e32 v10, v6, v8
	s_wait_alu 0xfffd
	v_subrev_co_ci_u32_e64 v10, s2, s21, v10, vcc_lo
	v_add_co_u32 v11, s2, v4, 2
	s_wait_alu 0xf1ff
	v_add_co_ci_u32_e64 v12, s2, 0, v9, s2
	v_sub_co_u32 v13, s2, v7, s20
	v_sub_co_ci_u32_e32 v8, vcc_lo, v6, v8, vcc_lo
	s_wait_alu 0xf1ff
	v_subrev_co_ci_u32_e64 v10, s2, 0, v10, s2
	s_delay_alu instid0(VALU_DEP_3) | instskip(NEXT) | instid1(VALU_DEP_3)
	v_cmp_le_u32_e32 vcc_lo, s20, v13
	v_cmp_eq_u32_e64 s2, s21, v8
	s_wait_alu 0xfffd
	v_cndmask_b32_e64 v13, 0, -1, vcc_lo
	v_cmp_le_u32_e32 vcc_lo, s21, v10
	s_wait_alu 0xfffd
	v_cndmask_b32_e64 v14, 0, -1, vcc_lo
	v_cmp_le_u32_e32 vcc_lo, s20, v7
	;; [unrolled: 3-line block ×3, first 2 shown]
	s_wait_alu 0xfffd
	v_cndmask_b32_e64 v15, 0, -1, vcc_lo
	v_cmp_eq_u32_e32 vcc_lo, s21, v10
	s_wait_alu 0xf1ff
	s_delay_alu instid0(VALU_DEP_2)
	v_cndmask_b32_e64 v7, v15, v7, s2
	s_wait_alu 0xfffd
	v_cndmask_b32_e32 v10, v14, v13, vcc_lo
	v_add_co_u32 v13, vcc_lo, v4, 1
	s_wait_alu 0xfffd
	v_add_co_ci_u32_e32 v14, vcc_lo, 0, v9, vcc_lo
	s_delay_alu instid0(VALU_DEP_3) | instskip(SKIP_2) | instid1(VALU_DEP_3)
	v_cmp_ne_u32_e32 vcc_lo, 0, v10
	s_wait_alu 0xfffd
	v_cndmask_b32_e32 v10, v13, v11, vcc_lo
	v_cndmask_b32_e32 v8, v14, v12, vcc_lo
	v_cmp_ne_u32_e32 vcc_lo, 0, v7
	s_wait_alu 0xfffd
	s_delay_alu instid0(VALU_DEP_2)
	v_dual_cndmask_b32 v7, v4, v10 :: v_dual_cndmask_b32 v8, v9, v8
.LBB0_4:                                ;   in Loop: Header=BB0_2 Depth=1
	s_wait_alu 0xfffe
	s_and_not1_saveexec_b32 s2, s22
	s_cbranch_execz .LBB0_6
; %bb.5:                                ;   in Loop: Header=BB0_2 Depth=1
	v_cvt_f32_u32_e32 v4, s20
	s_sub_co_i32 s22, 0, s20
	s_delay_alu instid0(VALU_DEP_1) | instskip(NEXT) | instid1(TRANS32_DEP_1)
	v_rcp_iflag_f32_e32 v4, v4
	v_mul_f32_e32 v4, 0x4f7ffffe, v4
	s_delay_alu instid0(VALU_DEP_1) | instskip(SKIP_1) | instid1(VALU_DEP_1)
	v_cvt_u32_f32_e32 v4, v4
	s_wait_alu 0xfffe
	v_mul_lo_u32 v7, s22, v4
	s_delay_alu instid0(VALU_DEP_1) | instskip(NEXT) | instid1(VALU_DEP_1)
	v_mul_hi_u32 v7, v4, v7
	v_add_nc_u32_e32 v4, v4, v7
	s_delay_alu instid0(VALU_DEP_1) | instskip(NEXT) | instid1(VALU_DEP_1)
	v_mul_hi_u32 v4, v5, v4
	v_mul_lo_u32 v7, v4, s20
	v_add_nc_u32_e32 v8, 1, v4
	s_delay_alu instid0(VALU_DEP_2) | instskip(NEXT) | instid1(VALU_DEP_1)
	v_sub_nc_u32_e32 v7, v5, v7
	v_subrev_nc_u32_e32 v9, s20, v7
	v_cmp_le_u32_e32 vcc_lo, s20, v7
	s_wait_alu 0xfffd
	s_delay_alu instid0(VALU_DEP_2) | instskip(NEXT) | instid1(VALU_DEP_1)
	v_dual_cndmask_b32 v7, v7, v9 :: v_dual_cndmask_b32 v4, v4, v8
	v_cmp_le_u32_e32 vcc_lo, s20, v7
	s_delay_alu instid0(VALU_DEP_2) | instskip(SKIP_1) | instid1(VALU_DEP_1)
	v_add_nc_u32_e32 v8, 1, v4
	s_wait_alu 0xfffd
	v_dual_cndmask_b32 v7, v4, v8 :: v_dual_mov_b32 v8, v3
.LBB0_6:                                ;   in Loop: Header=BB0_2 Depth=1
	s_wait_alu 0xfffe
	s_or_b32 exec_lo, exec_lo, s2
	s_load_b64 s[22:23], s[14:15], 0x0
	s_delay_alu instid0(VALU_DEP_1)
	v_mul_lo_u32 v4, v8, s20
	v_mul_lo_u32 v11, v7, s21
	v_mad_co_u64_u32 v[9:10], null, v7, s20, 0
	s_add_nc_u64 s[16:17], s[16:17], 1
	s_add_nc_u64 s[14:15], s[14:15], 8
	s_wait_alu 0xfffe
	v_cmp_ge_u64_e64 s2, s[16:17], s[6:7]
	s_add_nc_u64 s[18:19], s[18:19], 8
	s_delay_alu instid0(VALU_DEP_2) | instskip(NEXT) | instid1(VALU_DEP_3)
	v_add3_u32 v4, v10, v11, v4
	v_sub_co_u32 v5, vcc_lo, v5, v9
	s_wait_alu 0xfffd
	s_delay_alu instid0(VALU_DEP_2) | instskip(SKIP_3) | instid1(VALU_DEP_2)
	v_sub_co_ci_u32_e32 v4, vcc_lo, v6, v4, vcc_lo
	s_and_b32 vcc_lo, exec_lo, s2
	s_wait_kmcnt 0x0
	v_mul_lo_u32 v6, s23, v5
	v_mul_lo_u32 v4, s22, v4
	v_mad_co_u64_u32 v[1:2], null, s22, v5, v[1:2]
	s_delay_alu instid0(VALU_DEP_1)
	v_add3_u32 v2, v6, v2, v4
	s_wait_alu 0xfffe
	s_cbranch_vccnz .LBB0_9
; %bb.7:                                ;   in Loop: Header=BB0_2 Depth=1
	v_dual_mov_b32 v5, v7 :: v_dual_mov_b32 v6, v8
	s_branch .LBB0_2
.LBB0_8:
	v_dual_mov_b32 v8, v6 :: v_dual_mov_b32 v7, v5
.LBB0_9:
	s_lshl_b64 s[2:3], s[6:7], 3
	v_mul_hi_u32 v3, 0x25ed098, v0
	s_wait_alu 0xfffe
	s_add_nc_u64 s[2:3], s[12:13], s[2:3]
	s_load_b64 s[0:1], s[0:1], 0x20
	s_load_b64 s[2:3], s[2:3], 0x0
	s_delay_alu instid0(VALU_DEP_1) | instskip(NEXT) | instid1(VALU_DEP_1)
	v_mul_u32_u24_e32 v3, 0x6c, v3
	v_sub_nc_u32_e32 v111, v0, v3
	s_delay_alu instid0(VALU_DEP_1)
	v_add_nc_u32_e32 v116, 0x6c, v111
	v_add_nc_u32_e32 v114, 0xd8, v111
	;; [unrolled: 1-line block ×4, first 2 shown]
	s_wait_kmcnt 0x0
	v_cmp_gt_u64_e32 vcc_lo, s[0:1], v[7:8]
	v_mul_lo_u32 v3, s2, v8
	v_mul_lo_u32 v4, s3, v7
	v_mad_co_u64_u32 v[0:1], null, s2, v7, v[1:2]
	v_cmp_le_u64_e64 s0, s[0:1], v[7:8]
                                        ; implicit-def: $sgpr2
	s_delay_alu instid0(VALU_DEP_2) | instskip(NEXT) | instid1(VALU_DEP_2)
	v_add3_u32 v1, v4, v1, v3
	s_and_saveexec_b32 s1, s0
	s_wait_alu 0xfffe
	s_xor_b32 s0, exec_lo, s1
; %bb.10:
	v_add_nc_u32_e32 v116, 0x6c, v111
	v_add_nc_u32_e32 v114, 0xd8, v111
	;; [unrolled: 1-line block ×4, first 2 shown]
	s_mov_b32 s2, 0
; %bb.11:
	s_wait_alu 0xfffe
	s_or_saveexec_b32 s1, s0
	v_lshlrev_b64_e32 v[92:93], 4, v[0:1]
	v_mov_b32_e32 v110, s2
                                        ; implicit-def: $vgpr10_vgpr11
                                        ; implicit-def: $vgpr2_vgpr3
                                        ; implicit-def: $vgpr6_vgpr7
                                        ; implicit-def: $vgpr22_vgpr23
                                        ; implicit-def: $vgpr18_vgpr19
                                        ; implicit-def: $vgpr26_vgpr27
                                        ; implicit-def: $vgpr46_vgpr47
                                        ; implicit-def: $vgpr62_vgpr63
                                        ; implicit-def: $vgpr54_vgpr55
                                        ; implicit-def: $vgpr66_vgpr67
                                        ; implicit-def: $vgpr70_vgpr71
                                        ; implicit-def: $vgpr58_vgpr59
                                        ; implicit-def: $vgpr82_vgpr83
                                        ; implicit-def: $vgpr90_vgpr91
                                        ; implicit-def: $vgpr86_vgpr87
                                        ; implicit-def: $vgpr50_vgpr51
                                        ; implicit-def: $vgpr30_vgpr31
                                        ; implicit-def: $vgpr14_vgpr15
	s_wait_alu 0xfffe
	s_xor_b32 exec_lo, exec_lo, s1
	s_cbranch_execz .LBB0_15
; %bb.12:
	v_add_nc_u32_e32 v10, 0x240, v111
	v_mad_co_u64_u32 v[0:1], null, s8, v111, 0
	v_mad_co_u64_u32 v[4:5], null, s8, v116, 0
	s_delay_alu instid0(VALU_DEP_3) | instskip(SKIP_3) | instid1(VALU_DEP_3)
	v_mad_co_u64_u32 v[2:3], null, s8, v10, 0
	v_or_b32_e32 v11, 0x480, v111
	v_mad_co_u64_u32 v[20:21], null, s8, v114, 0
	v_mad_co_u64_u32 v[34:35], null, s8, v112, 0
	;; [unrolled: 1-line block ×4, first 2 shown]
	v_add_co_u32 v32, s0, s10, v92
	s_wait_alu 0xf1ff
	v_add_co_ci_u32_e64 v33, s0, s11, v93, s0
	v_mad_co_u64_u32 v[52:53], null, s8, v113, 0
	s_delay_alu instid0(VALU_DEP_4) | instskip(SKIP_3) | instid1(VALU_DEP_4)
	v_mov_b32_e32 v1, v8
	v_mad_co_u64_u32 v[9:10], null, s9, v10, v[3:4]
	v_add_nc_u32_e32 v12, 0x2ac, v111
	v_add_nc_u32_e32 v43, 0x5c4, v111
	v_lshlrev_b64_e32 v[0:1], 4, v[0:1]
	v_add_nc_u32_e32 v59, 0x3f0, v111
	s_mov_b32 s2, exec_lo
                                        ; implicit-def: $vgpr84_vgpr85
                                        ; implicit-def: $vgpr88_vgpr89
                                        ; implicit-def: $vgpr80_vgpr81
	v_dual_mov_b32 v3, v9 :: v_dual_add_nc_u32 v26, 0x318, v111
	v_mad_co_u64_u32 v[8:9], null, s9, v116, v[5:6]
	v_mad_co_u64_u32 v[16:17], null, s8, v12, 0
	s_delay_alu instid0(VALU_DEP_3)
	v_lshlrev_b64_e32 v[2:3], 4, v[2:3]
	v_add_co_u32 v0, s0, v32, v0
	s_wait_alu 0xf1ff
	v_add_co_ci_u32_e64 v1, s0, v33, v1, s0
	v_mad_co_u64_u32 v[9:10], null, s9, v11, v[7:8]
	v_dual_mov_b32 v5, v8 :: v_dual_add_nc_u32 v10, 0x4ec, v111
	v_mov_b32_e32 v8, v17
	v_add_co_u32 v2, s0, v32, v2
	s_delay_alu instid0(VALU_DEP_3) | instskip(NEXT) | instid1(VALU_DEP_4)
	v_lshlrev_b64_e32 v[4:5], 4, v[4:5]
	v_mad_co_u64_u32 v[18:19], null, s8, v10, 0
	v_mov_b32_e32 v7, v9
	v_mad_co_u64_u32 v[8:9], null, s9, v12, v[8:9]
	s_wait_alu 0xf1ff
	v_add_co_ci_u32_e64 v3, s0, v33, v3, s0
	s_delay_alu instid0(VALU_DEP_3) | instskip(SKIP_3) | instid1(VALU_DEP_3)
	v_lshlrev_b64_e32 v[6:7], 4, v[6:7]
	v_dual_mov_b32 v9, v19 :: v_dual_add_nc_u32 v28, 0x558, v111
	v_mad_co_u64_u32 v[54:55], null, s8, v59, 0
	v_mov_b32_e32 v17, v8
	v_mad_co_u64_u32 v[22:23], null, s9, v10, v[9:10]
	v_add_co_u32 v6, s0, v32, v6
	s_delay_alu instid0(VALU_DEP_3)
	v_lshlrev_b64_e32 v[16:17], 4, v[16:17]
	s_wait_alu 0xf1ff
	v_add_co_ci_u32_e64 v7, s0, v33, v7, s0
	v_add_co_u32 v4, s0, v32, v4
	v_mov_b32_e32 v19, v22
	v_mad_co_u64_u32 v[22:23], null, s8, v26, 0
	s_wait_alu 0xf1ff
	v_add_co_ci_u32_e64 v5, s0, v33, v5, s0
	s_delay_alu instid0(VALU_DEP_3)
	v_lshlrev_b64_e32 v[18:19], 4, v[18:19]
	v_add_co_u32 v16, s0, v32, v16
	s_wait_alu 0xf1ff
	v_add_co_ci_u32_e64 v17, s0, v33, v17, s0
	v_mad_co_u64_u32 v[24:25], null, s9, v114, v[21:22]
	v_add_nc_u32_e32 v42, 0x384, v111
	v_add_co_u32 v18, s0, v32, v18
	s_wait_alu 0xf1ff
	v_add_co_ci_u32_e64 v19, s0, v33, v19, s0
	s_clause 0x3
	global_load_b128 v[12:15], v[0:1], off
	global_load_b128 v[8:11], v[2:3], off
	;; [unrolled: 1-line block ×4, first 2 shown]
	v_mov_b32_e32 v21, v24
	v_mad_co_u64_u32 v[24:25], null, s8, v28, 0
	v_add_nc_u32_e32 v60, 0x630, v111
	s_delay_alu instid0(VALU_DEP_3) | instskip(NEXT) | instid1(VALU_DEP_3)
	v_lshlrev_b64_e32 v[20:21], 4, v[20:21]
	v_mad_co_u64_u32 v[26:27], null, s9, v26, v[23:24]
	s_delay_alu instid0(VALU_DEP_1) | instskip(SKIP_1) | instid1(VALU_DEP_4)
	v_mov_b32_e32 v23, v26
	v_mad_co_u64_u32 v[25:26], null, s9, v28, v[25:26]
	v_add_co_u32 v26, s0, v32, v20
	s_wait_alu 0xf1ff
	v_add_co_ci_u32_e64 v27, s0, v33, v21, s0
	v_lshlrev_b64_e32 v[21:22], 4, v[22:23]
	v_mov_b32_e32 v20, v35
	v_lshlrev_b64_e32 v[40:41], 4, v[24:25]
	s_delay_alu instid0(VALU_DEP_3) | instskip(NEXT) | instid1(VALU_DEP_3)
	v_add_co_u32 v38, s0, v32, v21
	v_mad_co_u64_u32 v[35:36], null, s9, v112, v[20:21]
	s_wait_alu 0xf1ff
	v_add_co_ci_u32_e64 v39, s0, v33, v22, s0
	v_mad_co_u64_u32 v[36:37], null, s8, v42, 0
	s_clause 0x3
	global_load_b128 v[20:23], v[16:17], off
	global_load_b128 v[16:19], v[18:19], off
	;; [unrolled: 1-line block ×4, first 2 shown]
	v_add_co_u32 v38, s0, v32, v40
	s_wait_alu 0xf1ff
	v_add_co_ci_u32_e64 v39, s0, v33, v41, s0
	v_lshlrev_b64_e32 v[34:35], 4, v[34:35]
	s_delay_alu instid0(VALU_DEP_3) | instskip(SKIP_1) | instid1(VALU_DEP_3)
	v_mad_co_u64_u32 v[40:41], null, s9, v42, v[37:38]
	v_mad_co_u64_u32 v[41:42], null, s8, v43, 0
	v_add_co_u32 v34, s0, v32, v34
	s_wait_alu 0xf1ff
	s_delay_alu instid0(VALU_DEP_4) | instskip(NEXT) | instid1(VALU_DEP_3)
	v_add_co_ci_u32_e64 v35, s0, v33, v35, s0
	v_dual_mov_b32 v37, v40 :: v_dual_mov_b32 v40, v42
	v_mov_b32_e32 v42, v53
	s_delay_alu instid0(VALU_DEP_2)
	v_mad_co_u64_u32 v[43:44], null, s9, v43, v[40:41]
	s_clause 0x1
	global_load_b128 v[44:47], v[38:39], off
	global_load_b128 v[48:51], v[34:35], off
	v_lshlrev_b64_e32 v[35:36], 4, v[36:37]
	v_mov_b32_e32 v34, v55
	v_mad_co_u64_u32 v[56:57], null, s9, v113, v[42:43]
	v_mad_co_u64_u32 v[57:58], null, s8, v60, 0
	s_delay_alu instid0(VALU_DEP_3) | instskip(SKIP_2) | instid1(VALU_DEP_4)
	v_mad_co_u64_u32 v[37:38], null, s9, v59, v[34:35]
	v_mov_b32_e32 v42, v43
	v_add_co_u32 v35, s0, v32, v35
	v_dual_mov_b32 v53, v56 :: v_dual_mov_b32 v34, v58
	s_delay_alu instid0(VALU_DEP_3)
	v_lshlrev_b64_e32 v[38:39], 4, v[41:42]
	v_mov_b32_e32 v55, v37
	s_wait_alu 0xf1ff
	v_add_co_ci_u32_e64 v36, s0, v33, v36, s0
	v_mad_co_u64_u32 v[40:41], null, s9, v60, v[34:35]
	v_lshlrev_b64_e32 v[41:42], 4, v[52:53]
	v_add_co_u32 v37, s0, v32, v38
	s_wait_alu 0xf1ff
	v_add_co_ci_u32_e64 v38, s0, v33, v39, s0
	v_lshlrev_b64_e32 v[52:53], 4, v[54:55]
	v_mov_b32_e32 v58, v40
	v_add_co_u32 v39, s0, v32, v41
	s_wait_alu 0xf1ff
	v_add_co_ci_u32_e64 v40, s0, v33, v42, s0
	s_delay_alu instid0(VALU_DEP_3) | instskip(SKIP_3) | instid1(VALU_DEP_3)
	v_lshlrev_b64_e32 v[41:42], 4, v[57:58]
	v_add_co_u32 v56, s0, v32, v52
	s_wait_alu 0xf1ff
	v_add_co_ci_u32_e64 v57, s0, v33, v53, s0
	v_add_co_u32 v41, s0, v32, v41
	s_wait_alu 0xf1ff
	v_add_co_ci_u32_e64 v42, s0, v33, v42, s0
	s_clause 0x4
	global_load_b128 v[60:63], v[35:36], off
	global_load_b128 v[52:55], v[37:38], off
	;; [unrolled: 1-line block ×5, first 2 shown]
	v_cmpx_gt_u32_e32 36, v111
	s_cbranch_execz .LBB0_14
; %bb.13:
	v_add_nc_u32_e32 v40, 0x21c, v111
	v_add_nc_u32_e32 v42, 0x45c, v111
	;; [unrolled: 1-line block ×3, first 2 shown]
	s_delay_alu instid0(VALU_DEP_3) | instskip(NEXT) | instid1(VALU_DEP_3)
	v_mad_co_u64_u32 v[34:35], null, s8, v40, 0
	v_mad_co_u64_u32 v[36:37], null, s8, v42, 0
	s_delay_alu instid0(VALU_DEP_3) | instskip(NEXT) | instid1(VALU_DEP_2)
	v_mad_co_u64_u32 v[38:39], null, s8, v43, 0
	v_mad_co_u64_u32 v[40:41], null, s9, v40, v[35:36]
	s_delay_alu instid0(VALU_DEP_1) | instskip(NEXT) | instid1(VALU_DEP_3)
	v_mov_b32_e32 v35, v40
	v_mad_co_u64_u32 v[41:42], null, s9, v42, v[37:38]
	s_delay_alu instid0(VALU_DEP_4) | instskip(NEXT) | instid1(VALU_DEP_3)
	v_mad_co_u64_u32 v[42:43], null, s9, v43, v[39:40]
	v_lshlrev_b64_e32 v[34:35], 4, v[34:35]
	s_delay_alu instid0(VALU_DEP_3) | instskip(NEXT) | instid1(VALU_DEP_3)
	v_mov_b32_e32 v37, v41
	v_mov_b32_e32 v39, v42
	s_delay_alu instid0(VALU_DEP_3) | instskip(NEXT) | instid1(VALU_DEP_3)
	v_add_co_u32 v34, s0, v32, v34
	v_lshlrev_b64_e32 v[36:37], 4, v[36:37]
	s_wait_alu 0xf1ff
	v_add_co_ci_u32_e64 v35, s0, v33, v35, s0
	v_lshlrev_b64_e32 v[38:39], 4, v[38:39]
	s_delay_alu instid0(VALU_DEP_3) | instskip(SKIP_2) | instid1(VALU_DEP_3)
	v_add_co_u32 v36, s0, v32, v36
	s_wait_alu 0xf1ff
	v_add_co_ci_u32_e64 v37, s0, v33, v37, s0
	v_add_co_u32 v32, s0, v32, v38
	s_wait_alu 0xf1ff
	v_add_co_ci_u32_e64 v33, s0, v33, v39, s0
	s_clause 0x2
	global_load_b128 v[84:87], v[34:35], off
	global_load_b128 v[88:91], v[36:37], off
	;; [unrolled: 1-line block ×3, first 2 shown]
.LBB0_14:
	s_wait_alu 0xfffe
	s_or_b32 exec_lo, exec_lo, s2
	v_mov_b32_e32 v110, v111
.LBB0_15:
	s_or_b32 exec_lo, exec_lo, s1
	s_wait_loadcnt 0xc
	v_add_f64_e32 v[32:33], v[8:9], v[0:1]
	s_wait_loadcnt 0x9
	v_add_f64_e32 v[34:35], v[20:21], v[16:17]
	;; [unrolled: 2-line block ×5, first 2 shown]
	v_add_f64_e32 v[42:43], v[80:81], v[88:89]
	v_add_f64_e32 v[72:73], v[8:9], v[12:13]
	v_add_f64_e64 v[74:75], v[10:11], -v[2:3]
	v_add_f64_e32 v[76:77], v[4:5], v[20:21]
	v_add_f64_e32 v[94:95], v[60:61], v[48:49]
	;; [unrolled: 1-line block ×4, first 2 shown]
	v_add_f64_e64 v[100:101], v[62:63], -v[54:55]
	v_add_f64_e64 v[102:103], v[90:91], -v[82:83]
	v_add_f64_e32 v[78:79], v[24:25], v[28:29]
	s_mov_b32 s0, 0xe8584caa
	s_mov_b32 s1, 0x3febb67a
	;; [unrolled: 1-line block ×3, first 2 shown]
	s_wait_alu 0xfffe
	s_mov_b32 s2, s0
	v_fma_f64 v[12:13], v[32:33], -0.5, v[12:13]
	v_fma_f64 v[4:5], v[34:35], -0.5, v[4:5]
	v_add_f64_e64 v[34:35], v[26:27], -v[46:47]
	v_fma_f64 v[36:37], v[36:37], -0.5, v[28:29]
	v_fma_f64 v[38:39], v[38:39], -0.5, v[48:49]
	v_add_f64_e64 v[48:49], v[70:71], -v[58:59]
	;; [unrolled: 3-line block ×3, first 2 shown]
	v_add_f64_e32 v[72:73], v[0:1], v[72:73]
	v_add_f64_e32 v[84:85], v[52:53], v[94:95]
	;; [unrolled: 1-line block ×6, first 2 shown]
	v_fma_f64 v[94:95], v[74:75], s[0:1], v[12:13]
	s_wait_alu 0xfffe
	v_fma_f64 v[12:13], v[74:75], s[2:3], v[12:13]
	v_fma_f64 v[104:105], v[34:35], s[0:1], v[36:37]
	;; [unrolled: 1-line block ×11, first 2 shown]
	v_mad_u32_u24 v5, v111, 24, 0
	v_mad_i32_i24 v4, v116, 24, 0
	v_mad_i32_i24 v102, v114, 24, 0
	v_cmp_gt_u32_e64 s1, 36, v111
	v_mad_i32_i24 v40, v112, 24, 0
	v_mad_i32_i24 v41, v113, 24, 0
	ds_store_2addr_b64 v5, v[72:73], v[94:95] offset1:1
	ds_store_b64 v5, v[12:13] offset:16
	ds_store_2addr_b64 v4, v[76:77], v[74:75] offset1:1
	ds_store_b64 v4, v[32:33] offset:16
	;; [unrolled: 2-line block ×5, first 2 shown]
	s_and_saveexec_b32 s0, s1
	s_cbranch_execz .LBB0_17
; %bb.16:
	v_add_nc_u32_e32 v12, 0x32a0, v5
	ds_store_2addr_b64 v12, v[98:99], v[64:65] offset1:1
	ds_store_b64 v5, v[100:101] offset:12976
.LBB0_17:
	s_wait_alu 0xfffe
	s_or_b32 exec_lo, exec_lo, s0
	v_lshlrev_b32_e32 v12, 4, v111
	v_lshlrev_b32_e32 v104, 4, v116
	global_wb scope:SCOPE_SE
	s_wait_dscnt 0x0
	s_barrier_signal -1
	s_barrier_wait -1
	v_sub_nc_u32_e32 v115, v5, v12
	global_inv scope:SCOPE_SE
	v_sub_nc_u32_e32 v12, v4, v104
	v_cmp_gt_u32_e64 s0, 0x48, v111
	v_lshlrev_b32_e32 v103, 4, v114
	v_add_nc_u32_e32 v13, 0x800, v115
	v_add_nc_u32_e32 v32, 0x1000, v115
	;; [unrolled: 1-line block ×5, first 2 shown]
	ds_load_2addr_b64 v[40:43], v13 offset0:32 offset1:140
	ds_load_2addr_b64 v[32:35], v32 offset0:64 offset1:172
	;; [unrolled: 1-line block ×5, first 2 shown]
	ds_load_b64 v[84:85], v115
	ds_load_b64 v[94:95], v12
	v_mul_i32_i24_e32 v13, 24, v112
	v_mul_i32_i24_e32 v12, 24, v113
	s_and_saveexec_b32 s2, s0
	s_cbranch_execz .LBB0_19
; %bb.18:
	v_sub_nc_u32_e32 v28, v102, v103
	ds_load_b64 v[96:97], v115 offset:4032
	ds_load_b64 v[48:49], v115 offset:6336
	ds_load_b64 v[98:99], v115 offset:8640
	ds_load_b64 v[64:65], v115 offset:10944
	ds_load_b64 v[28:29], v28
	ds_load_b64 v[100:101], v115 offset:13248
.LBB0_19:
	s_wait_alu 0xfffe
	s_or_b32 exec_lo, exec_lo, s2
	v_add_f64_e32 v[105:106], v[10:11], v[2:3]
	v_add_f64_e32 v[117:118], v[26:27], v[46:47]
	;; [unrolled: 1-line block ×7, first 2 shown]
	v_add_f64_e64 v[0:1], v[8:9], -v[0:1]
	v_add_f64_e32 v[8:9], v[6:7], v[22:23]
	v_add_f64_e32 v[22:23], v[26:27], v[30:31]
	;; [unrolled: 1-line block ×5, first 2 shown]
	v_add_f64_e64 v[24:25], v[24:25], -v[44:45]
	v_add_f64_e64 v[44:45], v[60:61], -v[52:53]
	;; [unrolled: 1-line block ×5, first 2 shown]
	s_mov_b32 s2, 0xe8584caa
	s_mov_b32 s3, 0xbfebb67a
	;; [unrolled: 1-line block ×3, first 2 shown]
	s_wait_alu 0xfffe
	s_mov_b32 s6, s2
	global_wb scope:SCOPE_SE
	s_wait_dscnt 0x0
	s_barrier_signal -1
	s_barrier_wait -1
	global_inv scope:SCOPE_SE
	v_add_nc_u32_e32 v12, 0, v12
	v_fma_f64 v[14:15], v[105:106], -0.5, v[14:15]
	v_fma_f64 v[30:31], v[117:118], -0.5, v[30:31]
	;; [unrolled: 1-line block ×6, first 2 shown]
	v_add_f64_e32 v[2:3], v[2:3], v[10:11]
	v_add_f64_e32 v[8:9], v[8:9], v[18:19]
	;; [unrolled: 1-line block ×6, first 2 shown]
	v_fma_f64 v[22:23], v[0:1], s[2:3], v[14:15]
	v_fma_f64 v[54:55], v[24:25], s[2:3], v[30:31]
	s_wait_alu 0xfffe
	v_fma_f64 v[24:25], v[24:25], s[6:7], v[30:31]
	v_fma_f64 v[58:59], v[44:45], s[2:3], v[50:51]
	;; [unrolled: 1-line block ×10, first 2 shown]
	v_sub_nc_u32_e32 v6, 0, v104
	v_add_nc_u32_e32 v7, 0, v13
	ds_store_2addr_b64 v5, v[2:3], v[22:23] offset1:1
	ds_store_b64 v5, v[0:1] offset:16
	ds_store_2addr_b64 v4, v[8:9], v[14:15] offset1:1
	ds_store_b64 v4, v[16:17] offset:16
	;; [unrolled: 2-line block ×5, first 2 shown]
	s_and_saveexec_b32 s2, s1
	s_cbranch_execz .LBB0_21
; %bb.20:
	v_add_nc_u32_e32 v0, 0x21c, v111
	s_delay_alu instid0(VALU_DEP_1)
	v_mad_u32_u24 v0, v0, 24, 0
	ds_store_2addr_b64 v0, v[46:47], v[30:31] offset1:1
	ds_store_b64 v0, v[50:51] offset:16
.LBB0_21:
	s_wait_alu 0xfffe
	s_or_b32 exec_lo, exec_lo, s2
	v_add_nc_u32_e32 v0, 0x800, v115
	v_add_nc_u32_e32 v1, 0x1000, v115
	;; [unrolled: 1-line block ×6, first 2 shown]
	global_wb scope:SCOPE_SE
	s_wait_dscnt 0x0
	s_barrier_signal -1
	s_barrier_wait -1
	global_inv scope:SCOPE_SE
	ds_load_2addr_b64 v[8:11], v0 offset0:32 offset1:140
	ds_load_2addr_b64 v[0:3], v1 offset0:64 offset1:172
	;; [unrolled: 1-line block ×5, first 2 shown]
	ds_load_b64 v[24:25], v115
	ds_load_b64 v[22:23], v117
	s_and_saveexec_b32 s1, s0
	s_cbranch_execz .LBB0_23
; %bb.22:
	v_sub_nc_u32_e32 v20, v102, v103
	ds_load_b64 v[44:45], v115 offset:4032
	ds_load_b64 v[26:27], v115 offset:6336
	;; [unrolled: 1-line block ×4, first 2 shown]
	ds_load_b64 v[20:21], v20
	ds_load_b64 v[50:51], v115 offset:13248
.LBB0_23:
	s_wait_alu 0xfffe
	s_or_b32 exec_lo, exec_lo, s1
	v_and_b32_e32 v121, 0xff, v111
	v_and_b32_e32 v120, 0xff, v116
	;; [unrolled: 1-line block ×3, first 2 shown]
	s_mov_b32 s2, 0xe8584caa
	s_mov_b32 s3, 0x3febb67a
	v_mul_lo_u16 v52, 0xab, v121
	v_mul_lo_u16 v53, 0xab, v120
	s_mov_b32 s7, 0xbfebb67a
	s_wait_alu 0xfffe
	s_mov_b32 s6, s2
	v_lshrrev_b16 v118, 9, v52
	v_lshrrev_b16 v166, 9, v53
	v_mul_u32_u24_e32 v53, 0xaaab, v119
	s_delay_alu instid0(VALU_DEP_3) | instskip(NEXT) | instid1(VALU_DEP_3)
	v_mul_lo_u16 v52, v118, 3
	v_mul_lo_u16 v54, v166, 3
	s_delay_alu instid0(VALU_DEP_3) | instskip(NEXT) | instid1(VALU_DEP_3)
	v_lshrrev_b32_e32 v167, 17, v53
	v_sub_nc_u16 v52, v111, v52
	s_delay_alu instid0(VALU_DEP_3) | instskip(NEXT) | instid1(VALU_DEP_2)
	v_sub_nc_u16 v53, v116, v54
	v_and_b32_e32 v168, 0xff, v52
	s_delay_alu instid0(VALU_DEP_4) | instskip(NEXT) | instid1(VALU_DEP_3)
	v_mul_lo_u16 v52, v167, 3
	v_and_b32_e32 v169, 0xff, v53
	s_delay_alu instid0(VALU_DEP_3) | instskip(NEXT) | instid1(VALU_DEP_3)
	v_mul_u32_u24_e32 v53, 5, v168
	v_sub_nc_u16 v52, v114, v52
	s_delay_alu instid0(VALU_DEP_3) | instskip(NEXT) | instid1(VALU_DEP_3)
	v_mul_u32_u24_e32 v54, 5, v169
	v_lshlrev_b32_e32 v66, 4, v53
	s_delay_alu instid0(VALU_DEP_3) | instskip(NEXT) | instid1(VALU_DEP_3)
	v_and_b32_e32 v170, 0xffff, v52
	v_lshlrev_b32_e32 v67, 4, v54
	global_load_b128 v[52:55], v66, s[4:5] offset:32
	v_mul_u32_u24_e32 v68, 5, v170
	s_clause 0x1
	global_load_b128 v[56:59], v67, s[4:5] offset:32
	global_load_b128 v[60:63], v66, s[4:5] offset:64
	v_lshlrev_b32_e32 v90, 4, v68
	s_clause 0xb
	global_load_b128 v[68:71], v67, s[4:5] offset:64
	global_load_b128 v[80:83], v90, s[4:5] offset:32
	;; [unrolled: 1-line block ×3, first 2 shown]
	global_load_b128 v[102:105], v66, s[4:5]
	global_load_b128 v[106:109], v67, s[4:5]
	;; [unrolled: 1-line block ×3, first 2 shown]
	global_load_b128 v[126:129], v66, s[4:5] offset:16
	global_load_b128 v[130:133], v67, s[4:5] offset:16
	;; [unrolled: 1-line block ×6, first 2 shown]
	global_wb scope:SCOPE_SE
	s_wait_loadcnt_dscnt 0x0
	s_barrier_signal -1
	s_barrier_wait -1
	global_inv scope:SCOPE_SE
	v_mul_f64_e32 v[154:155], v[74:75], v[70:71]
	v_mul_f64_e32 v[66:67], v[12:13], v[54:55]
	;; [unrolled: 1-line block ×13, first 2 shown]
	v_fma_f64 v[164:165], v[76:77], v[52:53], -v[66:67]
	v_fma_f64 v[66:67], v[12:13], v[52:53], v[54:55]
	v_mul_f64_e32 v[12:13], v[40:41], v[104:105]
	v_mul_f64_e32 v[52:53], v[10:11], v[108:109]
	v_fma_f64 v[54:55], v[78:79], v[56:57], -v[90:91]
	v_mul_f64_e32 v[78:79], v[44:45], v[124:125]
	v_fma_f64 v[58:59], v[16:17], v[60:61], v[150:151]
	v_fma_f64 v[16:17], v[72:73], v[60:61], -v[62:63]
	v_mul_f64_e32 v[90:91], v[96:97], v[124:125]
	v_fma_f64 v[70:71], v[14:15], v[56:57], v[152:153]
	v_fma_f64 v[60:61], v[18:19], v[68:69], v[154:155]
	v_fma_f64 v[14:15], v[74:75], v[68:69], -v[156:157]
	v_fma_f64 v[18:19], v[98:99], v[80:81], -v[158:159]
	v_fma_f64 v[68:69], v[46:47], v[80:81], v[82:83]
	v_fma_f64 v[62:63], v[50:51], v[86:87], v[160:161]
	v_fma_f64 v[46:47], v[100:101], v[86:87], -v[88:89]
	v_mul_f64_e32 v[76:77], v[42:43], v[108:109]
	v_mul_f64_e32 v[50:51], v[0:1], v[128:129]
	;; [unrolled: 1-line block ×7, first 2 shown]
	v_fma_f64 v[40:41], v[40:41], v[102:103], -v[162:163]
	v_mul_f64_e32 v[100:101], v[36:37], v[136:137]
	v_mul_f64_e32 v[108:109], v[38:39], v[140:141]
	;; [unrolled: 1-line block ×3, first 2 shown]
	v_fma_f64 v[72:73], v[8:9], v[102:103], v[12:13]
	v_fma_f64 v[52:53], v[42:43], v[106:107], -v[52:53]
	v_fma_f64 v[104:105], v[96:97], v[122:123], -v[78:79]
	v_add_f64_e32 v[8:9], v[66:67], v[58:59]
	v_add_f64_e32 v[12:13], v[164:165], v[16:17]
	v_fma_f64 v[42:43], v[44:45], v[122:123], v[90:91]
	v_mul_f64_e32 v[96:97], v[32:33], v[128:129]
	v_mul_f64_e32 v[122:123], v[48:49], v[144:145]
	v_add_f64_e32 v[98:99], v[54:55], v[14:15]
	v_add_f64_e64 v[128:129], v[54:55], -v[14:15]
	v_add_f64_e32 v[44:45], v[68:69], v[62:63]
	v_add_f64_e32 v[90:91], v[18:19], v[46:47]
	v_fma_f64 v[74:75], v[10:11], v[106:107], v[76:77]
	v_add_f64_e32 v[10:11], v[70:71], v[60:61]
	v_mul_f64_e32 v[106:107], v[34:35], v[132:133]
	v_fma_f64 v[76:77], v[32:33], v[126:127], -v[50:51]
	v_fma_f64 v[34:35], v[34:35], v[130:131], -v[56:57]
	v_fma_f64 v[78:79], v[36:37], v[134:135], -v[80:81]
	v_fma_f64 v[38:39], v[38:39], v[138:139], -v[82:83]
	v_fma_f64 v[32:33], v[48:49], v[142:143], -v[86:87]
	v_fma_f64 v[36:37], v[64:65], v[146:147], -v[88:89]
	v_add_f64_e64 v[50:51], v[164:165], -v[16:17]
	v_add_f64_e64 v[56:57], v[70:71], -v[60:61]
	;; [unrolled: 1-line block ×5, first 2 shown]
	v_fma_f64 v[80:81], v[4:5], v[134:135], v[100:101]
	v_fma_f64 v[64:65], v[6:7], v[138:139], v[108:109]
	v_add_f64_e32 v[18:19], v[104:105], v[18:19]
	v_fma_f64 v[8:9], v[8:9], -0.5, v[72:73]
	v_fma_f64 v[12:13], v[12:13], -0.5, v[40:41]
	v_add_f64_e32 v[40:41], v[40:41], v[164:165]
	v_fma_f64 v[102:103], v[0:1], v[126:127], v[96:97]
	v_fma_f64 v[100:101], v[26:27], v[142:143], v[122:123]
	v_fma_f64 v[132:133], v[98:99], -0.5, v[52:53]
	v_fma_f64 v[26:27], v[30:31], v[146:147], v[124:125]
	v_add_f64_e32 v[52:53], v[52:53], v[54:55]
	v_fma_f64 v[44:45], v[44:45], -0.5, v[42:43]
	v_fma_f64 v[144:145], v[90:91], -0.5, v[104:105]
	;; [unrolled: 1-line block ×3, first 2 shown]
	v_fma_f64 v[98:99], v[2:3], v[130:131], v[106:107]
	v_add_f64_e32 v[6:7], v[84:85], v[76:77]
	v_add_f64_e32 v[124:125], v[94:95], v[34:35]
	v_add_f64_e32 v[0:1], v[76:77], v[78:79]
	v_add_f64_e32 v[2:3], v[34:35], v[38:39]
	v_add_f64_e32 v[54:55], v[28:29], v[32:33]
	v_add_f64_e32 v[4:5], v[32:33], v[36:37]
	v_add_f64_e32 v[18:19], v[18:19], v[46:47]
	s_wait_alu 0xfffe
	v_fma_f64 v[88:89], v[50:51], s[6:7], v[8:9]
	v_fma_f64 v[96:97], v[48:49], s[6:7], v[12:13]
	v_fma_f64 v[108:109], v[50:51], s[2:3], v[8:9]
	v_add_f64_e64 v[122:123], v[102:103], -v[80:81]
	v_add_f64_e32 v[16:17], v[40:41], v[16:17]
	v_fma_f64 v[90:91], v[56:57], s[6:7], v[132:133]
	v_add_f64_e64 v[130:131], v[100:101], -v[26:27]
	v_fma_f64 v[104:105], v[56:57], s[2:3], v[132:133]
	v_fma_f64 v[30:31], v[140:141], s[6:7], v[44:45]
	;; [unrolled: 1-line block ×3, first 2 shown]
	v_add_f64_e32 v[14:15], v[52:53], v[14:15]
	v_fma_f64 v[82:83], v[128:129], s[6:7], v[10:11]
	v_add_f64_e64 v[126:127], v[98:99], -v[64:65]
	v_fma_f64 v[106:107], v[128:129], s[2:3], v[10:11]
	v_add_f64_e32 v[6:7], v[6:7], v[78:79]
	v_fma_f64 v[0:1], v[0:1], -0.5, v[84:85]
	v_fma_f64 v[2:3], v[2:3], -0.5, v[94:95]
	v_fma_f64 v[94:95], v[48:49], s[2:3], v[12:13]
	v_fma_f64 v[4:5], v[4:5], -0.5, v[28:29]
	v_fma_f64 v[28:29], v[136:137], s[2:3], v[144:145]
	v_fma_f64 v[84:85], v[140:141], s[2:3], v[44:45]
	v_add_f64_e32 v[40:41], v[124:125], v[38:39]
	v_add_f64_e32 v[52:53], v[54:55], v[36:37]
	v_mul_f64_e32 v[8:9], s[2:3], v[88:89]
	v_mul_f64_e32 v[12:13], -0.5, v[96:97]
	v_mul_f64_e32 v[48:49], -0.5, v[90:91]
	v_mul_f64_e32 v[44:45], s[2:3], v[30:31]
	v_mul_f64_e32 v[50:51], -0.5, v[86:87]
	v_mul_f64_e32 v[10:11], s[2:3], v[82:83]
	v_fma_f64 v[46:47], v[122:123], s[2:3], v[0:1]
	v_fma_f64 v[0:1], v[122:123], s[6:7], v[0:1]
	;; [unrolled: 1-line block ×6, first 2 shown]
	v_add_f64_e32 v[126:127], v[6:7], v[16:17]
	v_add_f64_e64 v[6:7], v[6:7], -v[16:17]
	v_add_f64_e32 v[16:17], v[40:41], v[14:15]
	v_add_f64_e64 v[14:15], v[40:41], -v[14:15]
	v_add_f64_e32 v[40:41], v[52:53], v[18:19]
	v_fma_f64 v[8:9], v[94:95], 0.5, v[8:9]
	v_fma_f64 v[12:13], v[108:109], s[2:3], v[12:13]
	v_fma_f64 v[48:49], v[106:107], s[2:3], v[48:49]
	v_fma_f64 v[122:123], v[28:29], 0.5, v[44:45]
	v_fma_f64 v[124:125], v[84:85], s[2:3], v[50:51]
	v_add_f64_e64 v[50:51], v[52:53], -v[18:19]
	v_fma_f64 v[10:11], v[104:105], 0.5, v[10:11]
	v_add_f64_e32 v[18:19], v[46:47], v[8:9]
	v_add_f64_e64 v[8:9], v[46:47], -v[8:9]
	v_add_f64_e32 v[128:129], v[0:1], v[12:13]
	v_add_f64_e64 v[0:1], v[0:1], -v[12:13]
	;; [unrolled: 2-line block ×3, first 2 shown]
	v_add_f64_e32 v[48:49], v[56:57], v[122:123]
	v_add_f64_e32 v[44:45], v[4:5], v[124:125]
	v_add_f64_e64 v[46:47], v[56:57], -v[122:123]
	v_add_f64_e64 v[52:53], v[4:5], -v[124:125]
	v_add_f64_e32 v[12:13], v[54:55], v[10:11]
	v_add_f64_e64 v[10:11], v[54:55], -v[10:11]
	v_and_b32_e32 v4, 0xffff, v118
	v_and_b32_e32 v5, 0xffff, v166
	v_lshlrev_b32_e32 v54, 3, v168
	v_lshlrev_b32_e32 v55, 3, v169
	v_mul_lo_u16 v123, v167, 18
	v_mul_u32_u24_e32 v4, 0x90, v4
	v_mul_u32_u24_e32 v5, 0x90, v5
	v_lshlrev_b32_e32 v122, 3, v170
	s_delay_alu instid0(VALU_DEP_3) | instskip(NEXT) | instid1(VALU_DEP_3)
	v_add3_u32 v125, 0, v4, v54
	v_add3_u32 v124, 0, v5, v55
	ds_store_2addr_b64 v125, v[126:127], v[18:19] offset1:3
	ds_store_2addr_b64 v125, v[128:129], v[6:7] offset0:6 offset1:9
	ds_store_2addr_b64 v125, v[8:9], v[0:1] offset0:12 offset1:15
	ds_store_2addr_b64 v124, v[16:17], v[12:13] offset1:3
	ds_store_2addr_b64 v124, v[130:131], v[14:15] offset0:6 offset1:9
	ds_store_2addr_b64 v124, v[10:11], v[2:3] offset0:12 offset1:15
	s_and_saveexec_b32 s1, s0
	s_cbranch_execz .LBB0_25
; %bb.24:
	v_and_b32_e32 v0, 0xffff, v123
	s_delay_alu instid0(VALU_DEP_1) | instskip(NEXT) | instid1(VALU_DEP_1)
	v_lshlrev_b32_e32 v0, 3, v0
	v_add3_u32 v0, 0, v122, v0
	ds_store_2addr_b64 v0, v[40:41], v[48:49] offset1:3
	ds_store_2addr_b64 v0, v[44:45], v[50:51] offset0:6 offset1:9
	ds_store_2addr_b64 v0, v[46:47], v[52:53] offset0:12 offset1:15
.LBB0_25:
	s_wait_alu 0xfffe
	s_or_b32 exec_lo, exec_lo, s1
	v_add_nc_u32_e32 v0, 0x800, v115
	v_add_nc_u32_e32 v1, 0x1000, v115
	;; [unrolled: 1-line block ×5, first 2 shown]
	global_wb scope:SCOPE_SE
	s_wait_dscnt 0x0
	s_barrier_signal -1
	s_barrier_wait -1
	global_inv scope:SCOPE_SE
	ds_load_2addr_b64 v[8:11], v0 offset0:32 offset1:140
	ds_load_2addr_b64 v[0:3], v1 offset0:64 offset1:172
	;; [unrolled: 1-line block ×5, first 2 shown]
	ds_load_b64 v[54:55], v115
	ds_load_b64 v[56:57], v117
	v_lshl_add_u32 v118, v114, 3, 0
	s_and_saveexec_b32 s1, s0
	s_cbranch_execz .LBB0_27
; %bb.26:
	ds_load_b64 v[48:49], v115 offset:4032
	ds_load_b64 v[44:45], v115 offset:6336
	;; [unrolled: 1-line block ×4, first 2 shown]
	ds_load_b64 v[40:41], v118
	ds_load_b64 v[52:53], v115 offset:13248
.LBB0_27:
	s_wait_alu 0xfffe
	s_or_b32 exec_lo, exec_lo, s1
	v_add_f64_e32 v[126:127], v[102:103], v[80:81]
	v_add_f64_e32 v[128:129], v[98:99], v[64:65]
	;; [unrolled: 1-line block ×3, first 2 shown]
	s_mov_b32 s2, 0xe8584caa
	s_mov_b32 s3, 0xbfebb67a
	v_add_f64_e32 v[102:103], v[24:25], v[102:103]
	v_add_f64_e64 v[76:77], v[76:77], -v[78:79]
	v_add_f64_e32 v[66:67], v[72:73], v[66:67]
	v_mul_f64_e32 v[72:73], -0.5, v[108:109]
	v_add_f64_e32 v[78:79], v[22:23], v[98:99]
	v_add_f64_e32 v[70:71], v[74:75], v[70:71]
	;; [unrolled: 1-line block ×4, first 2 shown]
	s_wait_alu 0xfffe
	v_mul_f64_e32 v[68:69], s[2:3], v[94:95]
	v_add_f64_e64 v[34:35], v[34:35], -v[38:39]
	v_add_f64_e64 v[32:33], v[32:33], -v[36:37]
	v_mul_f64_e32 v[36:37], -0.5, v[84:85]
	v_mul_f64_e32 v[28:29], s[2:3], v[28:29]
	v_mul_f64_e32 v[94:95], s[2:3], v[104:105]
	v_mul_f64_e32 v[38:39], -0.5, v[106:107]
	s_mov_b32 s7, 0x3febb67a
	s_mov_b32 s6, s2
	global_wb scope:SCOPE_SE
	s_wait_dscnt 0x0
	s_barrier_signal -1
	s_barrier_wait -1
	global_inv scope:SCOPE_SE
	v_fma_f64 v[24:25], v[126:127], -0.5, v[24:25]
	v_fma_f64 v[22:23], v[128:129], -0.5, v[22:23]
	;; [unrolled: 1-line block ×3, first 2 shown]
	v_add_f64_e32 v[80:81], v[102:103], v[80:81]
	v_add_f64_e32 v[58:59], v[66:67], v[58:59]
	v_fma_f64 v[66:67], v[96:97], s[2:3], v[72:73]
	v_add_f64_e32 v[64:65], v[78:79], v[64:65]
	v_add_f64_e32 v[60:61], v[70:71], v[60:61]
	;; [unrolled: 1-line block ×4, first 2 shown]
	v_fma_f64 v[70:71], v[88:89], 0.5, v[68:69]
	v_fma_f64 v[28:29], v[30:31], 0.5, v[28:29]
	;; [unrolled: 1-line block ×3, first 2 shown]
	v_fma_f64 v[38:39], v[90:91], s[2:3], v[38:39]
	v_fma_f64 v[72:73], v[76:77], s[2:3], v[24:25]
	s_wait_alu 0xfffe
	v_fma_f64 v[24:25], v[76:77], s[6:7], v[24:25]
	v_fma_f64 v[76:77], v[34:35], s[2:3], v[22:23]
	v_fma_f64 v[22:23], v[34:35], s[6:7], v[22:23]
	v_fma_f64 v[34:35], v[86:87], s[2:3], v[36:37]
	v_fma_f64 v[30:31], v[32:33], s[2:3], v[20:21]
	v_fma_f64 v[20:21], v[32:33], s[6:7], v[20:21]
	v_add_f64_e32 v[32:33], v[80:81], v[58:59]
	v_add_f64_e64 v[36:37], v[80:81], -v[58:59]
	v_add_f64_e32 v[58:59], v[64:65], v[60:61]
	v_add_f64_e64 v[60:61], v[64:65], -v[60:61]
	;; [unrolled: 2-line block ×3, first 2 shown]
	v_add_f64_e32 v[26:27], v[72:73], v[70:71]
	v_add_f64_e32 v[78:79], v[24:25], v[66:67]
	v_add_f64_e64 v[72:73], v[72:73], -v[70:71]
	v_add_f64_e64 v[24:25], v[24:25], -v[66:67]
	v_add_f64_e32 v[80:81], v[76:77], v[74:75]
	v_add_f64_e32 v[66:67], v[30:31], v[28:29]
	;; [unrolled: 1-line block ×3, first 2 shown]
	v_add_f64_e64 v[64:65], v[30:31], -v[28:29]
	v_add_f64_e64 v[70:71], v[20:21], -v[34:35]
	v_add_f64_e32 v[82:83], v[22:23], v[38:39]
	v_add_f64_e64 v[74:75], v[76:77], -v[74:75]
	v_add_f64_e64 v[22:23], v[22:23], -v[38:39]
	ds_store_2addr_b64 v125, v[32:33], v[26:27] offset1:3
	ds_store_2addr_b64 v125, v[78:79], v[36:37] offset0:6 offset1:9
	ds_store_2addr_b64 v125, v[72:73], v[24:25] offset0:12 offset1:15
	ds_store_2addr_b64 v124, v[58:59], v[80:81] offset1:3
	ds_store_2addr_b64 v124, v[82:83], v[60:61] offset0:6 offset1:9
	ds_store_2addr_b64 v124, v[74:75], v[22:23] offset0:12 offset1:15
	s_and_saveexec_b32 s1, s0
	s_cbranch_execz .LBB0_29
; %bb.28:
	v_and_b32_e32 v20, 0xffff, v123
	s_delay_alu instid0(VALU_DEP_1) | instskip(NEXT) | instid1(VALU_DEP_1)
	v_lshlrev_b32_e32 v20, 3, v20
	v_add3_u32 v20, 0, v122, v20
	ds_store_2addr_b64 v20, v[42:43], v[66:67] offset1:3
	ds_store_2addr_b64 v20, v[62:63], v[68:69] offset0:6 offset1:9
	ds_store_2addr_b64 v20, v[64:65], v[70:71] offset0:12 offset1:15
.LBB0_29:
	s_wait_alu 0xfffe
	s_or_b32 exec_lo, exec_lo, s1
	v_add_nc_u32_e32 v20, 0x800, v115
	v_add_nc_u32_e32 v21, 0x1000, v115
	;; [unrolled: 1-line block ×5, first 2 shown]
	global_wb scope:SCOPE_SE
	s_wait_dscnt 0x0
	s_barrier_signal -1
	s_barrier_wait -1
	global_inv scope:SCOPE_SE
	ds_load_2addr_b64 v[28:31], v20 offset0:32 offset1:140
	ds_load_2addr_b64 v[20:23], v21 offset0:64 offset1:172
	;; [unrolled: 1-line block ×5, first 2 shown]
	ds_load_b64 v[60:61], v115
	ds_load_b64 v[58:59], v117
	s_and_saveexec_b32 s1, s0
	s_cbranch_execz .LBB0_31
; %bb.30:
	ds_load_b64 v[66:67], v115 offset:4032
	ds_load_b64 v[62:63], v115 offset:6336
	;; [unrolled: 1-line block ×4, first 2 shown]
	ds_load_b64 v[42:43], v118
	ds_load_b64 v[70:71], v115 offset:13248
.LBB0_31:
	s_wait_alu 0xfffe
	s_or_b32 exec_lo, exec_lo, s1
	v_mul_lo_u16 v72, v121, 57
	v_mul_lo_u16 v73, v120, 57
	v_mul_u32_u24_e32 v123, 0xe38f, v119
	s_mov_b32 s2, 0xe8584caa
	s_mov_b32 s3, 0x3febb67a
	v_lshrrev_b16 v155, 10, v72
	v_lshrrev_b16 v156, 10, v73
	v_lshrrev_b32_e32 v158, 20, v123
	s_mov_b32 s7, 0xbfebb67a
	s_wait_alu 0xfffe
	s_mov_b32 s6, s2
	v_mul_lo_u16 v72, v155, 18
	v_mul_lo_u16 v73, v156, 18
	;; [unrolled: 1-line block ×3, first 2 shown]
	s_delay_alu instid0(VALU_DEP_3) | instskip(NEXT) | instid1(VALU_DEP_3)
	v_sub_nc_u16 v72, v111, v72
	v_sub_nc_u16 v73, v116, v73
	s_delay_alu instid0(VALU_DEP_3) | instskip(NEXT) | instid1(VALU_DEP_3)
	v_sub_nc_u16 v114, v114, v123
	v_and_b32_e32 v116, 0xff, v72
	s_delay_alu instid0(VALU_DEP_3) | instskip(NEXT) | instid1(VALU_DEP_3)
	v_and_b32_e32 v157, 0xff, v73
	v_and_b32_e32 v114, 0xffff, v114
	s_delay_alu instid0(VALU_DEP_3) | instskip(NEXT) | instid1(VALU_DEP_3)
	v_mul_u32_u24_e32 v72, 5, v116
	v_mul_u32_u24_e32 v73, 5, v157
	s_delay_alu instid0(VALU_DEP_3) | instskip(NEXT) | instid1(VALU_DEP_3)
	v_mul_u32_u24_e32 v123, 5, v114
	v_lshlrev_b32_e32 v106, 4, v72
	s_delay_alu instid0(VALU_DEP_3) | instskip(NEXT) | instid1(VALU_DEP_3)
	v_lshlrev_b32_e32 v120, 4, v73
	v_lshlrev_b32_e32 v139, 4, v123
	s_clause 0xe
	global_load_b128 v[72:75], v106, s[4:5] offset:272
	global_load_b128 v[76:79], v106, s[4:5] offset:304
	;; [unrolled: 1-line block ×15, first 2 shown]
	global_wb scope:SCOPE_SE
	s_wait_loadcnt_dscnt 0x0
	s_barrier_signal -1
	s_barrier_wait -1
	global_inv scope:SCOPE_SE
	v_mul_f64_e32 v[143:144], v[32:33], v[74:75]
	v_mul_f64_e32 v[74:75], v[16:17], v[74:75]
	;; [unrolled: 1-line block ×12, first 2 shown]
	v_fma_f64 v[143:144], v[16:17], v[72:73], -v[143:144]
	v_fma_f64 v[32:33], v[32:33], v[72:73], v[74:75]
	v_fma_f64 v[16:17], v[36:37], v[76:77], v[145:146]
	v_fma_f64 v[145:146], v[12:13], v[76:77], -v[78:79]
	v_fma_f64 v[74:75], v[18:19], v[80:81], -v[147:148]
	v_fma_f64 v[18:19], v[34:35], v[80:81], v[82:83]
	v_fma_f64 v[12:13], v[38:39], v[84:85], v[149:150]
	v_fma_f64 v[82:83], v[14:15], v[84:85], -v[86:87]
	v_mul_f64_e32 v[14:15], v[20:21], v[100:101]
	v_mul_f64_e32 v[34:35], v[22:23], v[104:105]
	;; [unrolled: 1-line block ×4, first 2 shown]
	v_fma_f64 v[84:85], v[8:9], v[88:89], -v[151:152]
	v_fma_f64 v[8:9], v[28:29], v[88:89], v[90:91]
	v_fma_f64 v[86:87], v[10:11], v[94:95], -v[153:154]
	v_fma_f64 v[10:11], v[30:31], v[94:95], v[96:97]
	v_mul_f64_e32 v[78:79], v[0:1], v[100:101]
	v_mul_f64_e32 v[80:81], v[2:3], v[104:105]
	;; [unrolled: 1-line block ×8, first 2 shown]
	v_add_f64_e32 v[28:29], v[32:33], v[16:17]
	v_add_f64_e32 v[72:73], v[143:144], v[145:146]
	v_add_f64_e64 v[108:109], v[32:33], -v[16:17]
	v_add_f64_e64 v[121:122], v[143:144], -v[145:146]
	v_add_f64_e32 v[30:31], v[18:19], v[12:13]
	v_add_f64_e32 v[76:77], v[74:75], v[82:83]
	v_fma_f64 v[14:15], v[0:1], v[98:99], -v[14:15]
	v_fma_f64 v[0:1], v[2:3], v[102:103], -v[34:35]
	;; [unrolled: 1-line block ×4, first 2 shown]
	v_add_f64_e64 v[149:150], v[74:75], -v[82:83]
	v_add_f64_e64 v[147:148], v[18:19], -v[12:13]
	v_mul_f64_e32 v[38:39], v[66:67], v[133:134]
	v_mul_f64_e32 v[133:134], v[48:49], v[133:134]
	v_fma_f64 v[6:7], v[26:27], v[119:120], v[90:91]
	v_mul_f64_e32 v[119:120], v[46:47], v[141:142]
	v_fma_f64 v[36:37], v[68:69], v[123:124], v[96:97]
	v_fma_f64 v[34:35], v[70:71], v[127:128], v[104:105]
	v_mul_f64_e32 v[104:105], v[62:63], v[137:138]
	v_fma_f64 v[125:126], v[28:29], -0.5, v[8:9]
	v_fma_f64 v[129:130], v[72:73], -0.5, v[84:85]
	v_fma_f64 v[72:73], v[20:21], v[98:99], v[78:79]
	v_fma_f64 v[20:21], v[24:25], v[106:107], v[88:89]
	v_fma_f64 v[151:152], v[30:31], -0.5, v[10:11]
	v_fma_f64 v[153:154], v[76:77], -0.5, v[86:87]
	v_fma_f64 v[78:79], v[50:51], v[123:124], -v[94:95]
	v_fma_f64 v[76:77], v[52:53], v[127:128], -v[100:101]
	v_add_f64_e32 v[50:51], v[14:15], v[4:5]
	v_add_f64_e32 v[52:53], v[0:1], v[2:3]
	v_fma_f64 v[30:31], v[22:23], v[102:103], v[80:81]
	v_add_f64_e32 v[84:85], v[84:85], v[143:144]
	v_fma_f64 v[80:81], v[48:49], v[131:132], -v[38:39]
	v_fma_f64 v[38:39], v[66:67], v[131:132], v[133:134]
	v_add_f64_e32 v[48:49], v[54:55], v[14:15]
	v_add_f64_e32 v[90:91], v[56:57], v[0:1]
	;; [unrolled: 1-line block ×3, first 2 shown]
	v_mul_f64_e32 v[106:107], v[44:45], v[137:138]
	v_add_f64_e32 v[98:99], v[36:37], v[34:35]
	s_wait_alu 0xfffe
	v_fma_f64 v[28:29], v[121:122], s[6:7], v[125:126]
	v_fma_f64 v[26:27], v[108:109], s[6:7], v[129:130]
	v_fma_f64 v[74:75], v[108:109], s[2:3], v[129:130]
	v_add_f64_e64 v[88:89], v[72:73], -v[20:21]
	v_fma_f64 v[24:25], v[149:150], s[6:7], v[151:152]
	v_fma_f64 v[22:23], v[147:148], s[6:7], v[153:154]
	;; [unrolled: 1-line block ×3, first 2 shown]
	v_add_f64_e32 v[96:97], v[78:79], v[76:77]
	v_fma_f64 v[50:51], v[50:51], -0.5, v[54:55]
	v_fma_f64 v[52:53], v[52:53], -0.5, v[56:57]
	v_add_f64_e64 v[94:95], v[30:31], -v[6:7]
	v_fma_f64 v[68:69], v[147:148], s[2:3], v[153:154]
	v_fma_f64 v[66:67], v[149:150], s[2:3], v[151:152]
	v_mul_f64_e32 v[108:109], v[64:65], v[141:142]
	v_add_f64_e64 v[121:122], v[36:37], -v[34:35]
	v_add_f64_e64 v[123:124], v[78:79], -v[76:77]
	v_add_f64_e32 v[48:49], v[48:49], v[4:5]
	v_add_f64_e32 v[84:85], v[84:85], v[145:146]
	v_add_f64_e32 v[82:83], v[86:87], v[82:83]
	v_add_f64_e32 v[90:91], v[90:91], v[2:3]
	v_fma_f64 v[62:63], v[62:63], v[135:136], v[106:107]
	v_mul_f64_e32 v[54:55], s[2:3], v[28:29]
	v_mul_f64_e32 v[56:57], -0.5, v[26:27]
	v_mul_f64_e32 v[100:101], s[2:3], v[24:25]
	v_mul_f64_e32 v[102:103], -0.5, v[22:23]
	v_fma_f64 v[86:87], v[96:97], -0.5, v[80:81]
	v_fma_f64 v[96:97], v[98:99], -0.5, v[38:39]
	v_fma_f64 v[98:99], v[88:89], s[2:3], v[50:51]
	v_fma_f64 v[88:89], v[88:89], s[6:7], v[50:51]
	;; [unrolled: 1-line block ×4, first 2 shown]
	v_fma_f64 v[52:53], v[44:45], v[135:136], -v[104:105]
	v_fma_f64 v[44:45], v[64:65], v[139:140], v[119:120]
	v_and_b32_e32 v64, 0xffff, v155
	v_and_b32_e32 v65, 0xffff, v156
	v_add_f64_e32 v[104:105], v[48:49], v[84:85]
	v_add_f64_e64 v[84:85], v[48:49], -v[84:85]
	v_add_f64_e32 v[106:107], v[90:91], v[82:83]
	v_add_f64_e64 v[90:91], v[90:91], -v[82:83]
	v_mul_u32_u24_e32 v82, 0x360, v64
	v_lshlrev_b32_e32 v83, 3, v116
	v_lshlrev_b32_e32 v64, 3, v114
	s_delay_alu instid0(VALU_DEP_2)
	v_add3_u32 v83, 0, v82, v83
	v_fma_f64 v[125:126], v[74:75], 0.5, v[54:55]
	v_fma_f64 v[56:57], v[70:71], s[2:3], v[56:57]
	v_fma_f64 v[54:55], v[46:47], v[139:140], -v[108:109]
	v_fma_f64 v[100:101], v[68:69], 0.5, v[100:101]
	v_fma_f64 v[102:103], v[66:67], s[2:3], v[102:103]
	v_fma_f64 v[50:51], v[121:122], s[2:3], v[86:87]
	;; [unrolled: 1-line block ×4, first 2 shown]
	v_add_f64_e32 v[86:87], v[98:99], v[125:126]
	v_add_f64_e32 v[108:109], v[88:89], v[56:57]
	v_add_f64_e64 v[88:89], v[88:89], -v[56:57]
	v_fma_f64 v[56:57], v[123:124], s[2:3], v[96:97]
	v_add_f64_e64 v[98:99], v[98:99], -v[125:126]
	v_add_f64_e32 v[119:120], v[127:128], v[100:101]
	v_add_f64_e32 v[121:122], v[94:95], v[102:103]
	v_add_f64_e64 v[100:101], v[127:128], -v[100:101]
	v_add_f64_e64 v[94:95], v[94:95], -v[102:103]
	v_mul_u32_u24_e32 v96, 0x360, v65
	v_lshlrev_b32_e32 v97, 3, v157
	v_mul_lo_u16 v65, 0x6c, v158
	s_delay_alu instid0(VALU_DEP_2)
	v_add3_u32 v82, 0, v96, v97
	ds_store_2addr_b64 v83, v[104:105], v[86:87] offset1:18
	ds_store_2addr_b64 v83, v[108:109], v[84:85] offset0:36 offset1:54
	ds_store_2addr_b64 v83, v[98:99], v[88:89] offset0:72 offset1:90
	ds_store_2addr_b64 v82, v[106:107], v[119:120] offset1:18
	ds_store_2addr_b64 v82, v[121:122], v[90:91] offset0:36 offset1:54
	ds_store_2addr_b64 v82, v[100:101], v[94:95] offset0:72 offset1:90
	s_and_saveexec_b32 s1, s0
	s_cbranch_execz .LBB0_33
; %bb.32:
	v_add_f64_e32 v[84:85], v[52:53], v[54:55]
	v_add_f64_e64 v[86:87], v[62:63], -v[44:45]
	v_mul_f64_e32 v[88:89], -0.5, v[46:47]
	v_add_f64_e32 v[90:91], v[40:41], v[52:53]
	v_add_f64_e32 v[78:79], v[80:81], v[78:79]
	v_mul_f64_e32 v[80:81], s[2:3], v[48:49]
	v_fma_f64 v[40:41], v[84:85], -0.5, v[40:41]
	v_fma_f64 v[84:85], v[56:57], s[2:3], v[88:89]
	v_add_f64_e32 v[88:89], v[90:91], v[54:55]
	v_add_f64_e32 v[76:77], v[78:79], v[76:77]
	v_fma_f64 v[78:79], v[50:51], 0.5, v[80:81]
	v_fma_f64 v[80:81], v[86:87], s[6:7], v[40:41]
	v_fma_f64 v[40:41], v[86:87], s[2:3], v[40:41]
	s_delay_alu instid0(VALU_DEP_4) | instskip(SKIP_1) | instid1(VALU_DEP_4)
	v_add_f64_e64 v[86:87], v[88:89], -v[76:77]
	v_add_f64_e32 v[76:77], v[88:89], v[76:77]
	v_add_f64_e64 v[88:89], v[80:81], -v[84:85]
	s_delay_alu instid0(VALU_DEP_4) | instskip(SKIP_3) | instid1(VALU_DEP_1)
	v_add_f64_e32 v[90:91], v[40:41], v[78:79]
	v_add_f64_e32 v[80:81], v[80:81], v[84:85]
	v_add_f64_e64 v[40:41], v[40:41], -v[78:79]
	v_and_b32_e32 v78, 0xffff, v65
	v_lshlrev_b32_e32 v78, 3, v78
	s_delay_alu instid0(VALU_DEP_1)
	v_add3_u32 v78, 0, v64, v78
	ds_store_2addr_b64 v78, v[76:77], v[90:91] offset1:18
	ds_store_2addr_b64 v78, v[80:81], v[86:87] offset0:36 offset1:54
	ds_store_2addr_b64 v78, v[40:41], v[88:89] offset0:72 offset1:90
.LBB0_33:
	s_wait_alu 0xfffe
	s_or_b32 exec_lo, exec_lo, s1
	v_add_f64_e32 v[40:41], v[72:73], v[20:21]
	v_add_f64_e32 v[76:77], v[30:31], v[6:7]
	v_add_f64_e32 v[72:73], v[60:61], v[72:73]
	v_add_f64_e64 v[4:5], v[14:15], -v[4:5]
	v_add_f64_e32 v[8:9], v[8:9], v[32:33]
	v_mul_f64_e32 v[14:15], s[6:7], v[74:75]
	v_add_f64_e32 v[10:11], v[10:11], v[18:19]
	v_mul_f64_e32 v[18:19], -0.5, v[70:71]
	v_add_f64_e32 v[30:31], v[58:59], v[30:31]
	v_add_f64_e64 v[0:1], v[0:1], -v[2:3]
	v_mul_f64_e32 v[2:3], s[6:7], v[68:69]
	global_wb scope:SCOPE_SE
	s_wait_dscnt 0x0
	s_barrier_signal -1
	s_barrier_wait -1
	global_inv scope:SCOPE_SE
	v_fma_f64 v[32:33], v[40:41], -0.5, v[60:61]
	v_mul_f64_e32 v[40:41], -0.5, v[66:67]
	v_fma_f64 v[58:59], v[76:77], -0.5, v[58:59]
	v_add_f64_e32 v[20:21], v[72:73], v[20:21]
	v_add_f64_e32 v[8:9], v[8:9], v[16:17]
	v_fma_f64 v[14:15], v[28:29], 0.5, v[14:15]
	v_add_f64_e32 v[10:11], v[10:11], v[12:13]
	v_fma_f64 v[12:13], v[26:27], s[6:7], v[18:19]
	v_add_f64_e32 v[6:7], v[30:31], v[6:7]
	v_fma_f64 v[2:3], v[24:25], 0.5, v[2:3]
	v_fma_f64 v[16:17], v[4:5], s[6:7], v[32:33]
	v_fma_f64 v[4:5], v[4:5], s[2:3], v[32:33]
	;; [unrolled: 1-line block ×5, first 2 shown]
	v_add_f64_e32 v[58:59], v[20:21], v[8:9]
	v_add_f64_e64 v[60:61], v[20:21], -v[8:9]
	v_lshl_add_u32 v32, v112, 3, 0
	v_add_f64_e32 v[66:67], v[6:7], v[10:11]
	v_add_f64_e64 v[68:69], v[6:7], -v[10:11]
	v_lshl_add_u32 v40, v113, 3, 0
	v_lshl_add_u32 v33, v111, 3, 0
	v_add_f64_e32 v[70:71], v[16:17], v[14:15]
	v_add_f64_e32 v[72:73], v[4:5], v[12:13]
	v_add_f64_e64 v[74:75], v[16:17], -v[14:15]
	v_add_f64_e64 v[76:77], v[4:5], -v[12:13]
	v_add_f64_e32 v[78:79], v[22:23], v[2:3]
	v_add_f64_e32 v[80:81], v[0:1], v[18:19]
	v_add_f64_e64 v[84:85], v[22:23], -v[2:3]
	v_add_f64_e64 v[86:87], v[0:1], -v[18:19]
	v_add_nc_u32_e32 v0, 0x1000, v115
	v_add_nc_u32_e32 v1, 0x1800, v115
	;; [unrolled: 1-line block ×5, first 2 shown]
	ds_load_b64 v[22:23], v117
	ds_load_b64 v[30:31], v118
	;; [unrolled: 1-line block ×5, first 2 shown]
	ds_load_b64 v[24:25], v33 offset:4320
	ds_load_2addr_b64 v[8:11], v0 offset0:136 offset1:244
	ds_load_2addr_b64 v[0:3], v1 offset0:96 offset1:204
	;; [unrolled: 1-line block ×5, first 2 shown]
	global_wb scope:SCOPE_SE
	s_wait_dscnt 0x0
	s_barrier_signal -1
	s_barrier_wait -1
	global_inv scope:SCOPE_SE
	ds_store_2addr_b64 v83, v[58:59], v[70:71] offset1:18
	ds_store_2addr_b64 v83, v[72:73], v[60:61] offset0:36 offset1:54
	ds_store_2addr_b64 v83, v[74:75], v[76:77] offset0:72 offset1:90
	ds_store_2addr_b64 v82, v[66:67], v[78:79] offset1:18
	ds_store_2addr_b64 v82, v[80:81], v[68:69] offset0:36 offset1:54
	ds_store_2addr_b64 v82, v[84:85], v[86:87] offset0:72 offset1:90
	s_and_saveexec_b32 s1, s0
	s_cbranch_execz .LBB0_35
; %bb.34:
	v_add_f64_e32 v[58:59], v[62:63], v[44:45]
	s_mov_b32 s2, 0xe8584caa
	s_mov_b32 s3, 0xbfebb67a
	v_add_f64_e32 v[60:61], v[42:43], v[62:63]
	v_add_f64_e64 v[52:53], v[52:53], -v[54:55]
	v_add_f64_e32 v[36:37], v[38:39], v[36:37]
	v_mul_f64_e32 v[38:39], -0.5, v[56:57]
	s_wait_alu 0xfffe
	v_mul_f64_e32 v[50:51], s[2:3], v[50:51]
	s_mov_b32 s7, 0x3febb67a
	s_mov_b32 s6, s2
	v_fma_f64 v[41:42], v[58:59], -0.5, v[42:43]
	v_add_f64_e32 v[43:44], v[60:61], v[44:45]
	v_add_f64_e32 v[34:35], v[36:37], v[34:35]
	v_fma_f64 v[36:37], v[46:47], s[2:3], v[38:39]
	v_fma_f64 v[38:39], v[48:49], 0.5, v[50:51]
	v_fma_f64 v[45:46], v[52:53], s[2:3], v[41:42]
	s_wait_alu 0xfffe
	v_fma_f64 v[41:42], v[52:53], s[6:7], v[41:42]
	v_add_f64_e32 v[47:48], v[43:44], v[34:35]
	v_add_f64_e64 v[34:35], v[43:44], -v[34:35]
	s_delay_alu instid0(VALU_DEP_4) | instskip(NEXT) | instid1(VALU_DEP_4)
	v_add_f64_e32 v[43:44], v[45:46], v[38:39]
	v_add_f64_e32 v[49:50], v[41:42], v[36:37]
	v_add_f64_e64 v[38:39], v[45:46], -v[38:39]
	v_add_f64_e64 v[36:37], v[41:42], -v[36:37]
	v_and_b32_e32 v41, 0xffff, v65
	s_delay_alu instid0(VALU_DEP_1) | instskip(NEXT) | instid1(VALU_DEP_1)
	v_lshlrev_b32_e32 v41, 3, v41
	v_add3_u32 v41, 0, v64, v41
	ds_store_2addr_b64 v41, v[47:48], v[43:44] offset1:18
	ds_store_2addr_b64 v41, v[49:50], v[34:35] offset0:36 offset1:54
	ds_store_2addr_b64 v41, v[38:39], v[36:37] offset0:72 offset1:90
.LBB0_35:
	s_wait_alu 0xfffe
	s_or_b32 exec_lo, exec_lo, s1
	global_wb scope:SCOPE_SE
	s_wait_dscnt 0x0
	s_barrier_signal -1
	s_barrier_wait -1
	global_inv scope:SCOPE_SE
	s_and_saveexec_b32 s0, vcc_lo
	s_cbranch_execz .LBB0_37
; %bb.36:
	v_mul_u32_u24_e32 v34, 15, v111
	v_add_nc_u32_e32 v39, 0x1000, v115
	s_mov_b32 s2, 0x667f3bcd
	s_mov_b32 s3, 0x3fe6a09e
	;; [unrolled: 1-line block ×3, first 2 shown]
	v_lshlrev_b32_e32 v38, 4, v34
	s_wait_alu 0xfffe
	s_mov_b32 s0, s2
	s_mov_b32 s6, 0xcf328d46
	;; [unrolled: 1-line block ×4, first 2 shown]
	s_clause 0xe
	global_load_b128 v[34:37], v38, s[4:5] offset:1696
	global_load_b128 v[41:44], v38, s[4:5] offset:1824
	;; [unrolled: 1-line block ×15, first 2 shown]
	v_add_nc_u32_e32 v38, 0x2000, v115
	ds_load_b64 v[89:90], v118
	s_mov_b32 s4, 0xa6aea964
	s_mov_b32 s5, 0x3fd87de2
	;; [unrolled: 1-line block ×3, first 2 shown]
	ds_load_2addr_b64 v[102:105], v38 offset0:56 offset1:164
	v_add_nc_u32_e32 v38, 0x2c00, v115
	s_mov_b32 s15, 0xbfed906b
	ds_load_2addr_b64 v[106:109], v39 offset0:136 offset1:244
	ds_load_2addr_b64 v[111:114], v38 offset0:104 offset1:212
	ds_load_b64 v[120:121], v40
	ds_load_b64 v[122:123], v117
	v_add_nc_u32_e32 v40, 0x1800, v115
	s_wait_alu 0xfffe
	s_mov_b32 s14, s6
	s_wait_loadcnt_dscnt 0xe05
	v_mul_f64_e32 v[124:125], v[89:90], v[36:37]
	v_mul_f64_e32 v[126:127], v[30:31], v[36:37]
	s_wait_loadcnt_dscnt 0xd04
	v_mul_f64_e32 v[128:129], v[102:103], v[43:44]
	v_mul_f64_e32 v[43:44], v[16:17], v[43:44]
	s_wait_loadcnt 0xc
	v_mul_f64_e32 v[132:133], v[8:9], v[47:48]
	s_wait_dscnt 0x3
	v_mul_f64_e32 v[47:48], v[106:107], v[47:48]
	s_wait_loadcnt 0xb
	v_mul_f64_e32 v[134:135], v[12:13], v[51:52]
	s_wait_dscnt 0x2
	v_mul_f64_e32 v[51:52], v[111:112], v[51:52]
	s_wait_loadcnt_dscnt 0xa01
	v_mul_f64_e32 v[136:137], v[120:121], v[55:56]
	v_add_nc_u32_e32 v36, 0x2800, v115
	ds_load_b64 v[130:131], v33 offset:4320
	ds_load_2addr_b64 v[36:39], v36 offset0:16 offset1:124
	ds_load_2addr_b64 v[116:119], v40 offset0:96 offset1:204
	ds_load_b64 v[32:33], v32
	ds_load_b64 v[140:141], v115
	s_wait_loadcnt_dscnt 0x905
	v_mul_f64_e32 v[138:139], v[122:123], v[59:60]
	s_wait_loadcnt 0x8
	v_mul_f64_e32 v[142:143], v[0:1], v[63:64]
	s_wait_loadcnt 0x5
	;; [unrolled: 2-line block ×5, first 2 shown]
	v_mul_f64_e32 v[156:157], v[10:11], v[96:97]
	v_mul_f64_e32 v[87:88], v[18:19], v[87:88]
	;; [unrolled: 1-line block ×3, first 2 shown]
	s_wait_dscnt 0x3
	v_mul_f64_e32 v[144:145], v[36:37], v[67:68]
	s_wait_dscnt 0x2
	v_mul_f64_e32 v[146:147], v[118:119], v[71:72]
	;; [unrolled: 2-line block ×3, first 2 shown]
	v_mul_f64_e32 v[83:84], v[26:27], v[83:84]
	v_fma_f64 v[30:31], v[30:31], v[34:35], -v[124:125]
	s_wait_loadcnt 0x0
	v_mul_f64_e32 v[124:125], v[14:15], v[100:101]
	v_fma_f64 v[34:35], v[34:35], v[89:90], v[126:127]
	v_mul_f64_e32 v[89:90], v[108:109], v[96:97]
	v_fma_f64 v[16:17], v[16:17], v[41:42], -v[128:129]
	v_fma_f64 v[40:41], v[41:42], v[102:103], v[43:44]
	v_mul_f64_e32 v[42:43], v[113:114], v[100:101]
	v_fma_f64 v[96:97], v[106:107], v[45:46], v[132:133]
	v_fma_f64 v[8:9], v[8:9], v[45:46], -v[47:48]
	v_mul_f64_e32 v[44:45], v[2:3], v[71:72]
	v_mul_f64_e32 v[46:47], v[130:131], v[75:76]
	v_fma_f64 v[71:72], v[111:112], v[49:50], v[134:135]
	v_fma_f64 v[12:13], v[12:13], v[49:50], -v[51:52]
	v_mul_f64_e32 v[48:49], v[38:39], v[79:80]
	v_mul_f64_e32 v[50:51], v[116:117], v[63:64]
	v_fma_f64 v[63:64], v[28:29], v[53:54], -v[136:137]
	v_mul_f64_e32 v[28:29], v[28:29], v[55:56]
	v_mul_f64_e32 v[55:56], v[4:5], v[67:68]
	v_fma_f64 v[22:23], v[22:23], v[57:58], -v[138:139]
	v_fma_f64 v[67:68], v[116:117], v[61:62], v[142:143]
	v_fma_f64 v[75:76], v[130:131], v[73:74], v[148:149]
	;; [unrolled: 1-line block ×3, first 2 shown]
	v_fma_f64 v[18:19], v[18:19], v[85:86], -v[154:155]
	v_fma_f64 v[79:80], v[108:109], v[94:95], v[156:157]
	v_add_nc_u32_e32 v126, 0x510, v110
	v_add_nc_u32_e32 v128, 0x5e8, v110
	v_add_co_u32 v134, vcc_lo, s10, v92
	s_wait_alu 0xfffd
	v_add_co_ci_u32_e32 v135, vcc_lo, s11, v93, vcc_lo
	v_add_nc_u32_e32 v116, 0xd8, v110
	v_add_nc_u32_e32 v117, 0x144, v110
	v_fma_f64 v[4:5], v[4:5], v[65:66], -v[144:145]
	v_fma_f64 v[2:3], v[2:3], v[69:70], -v[146:147]
	;; [unrolled: 1-line block ×3, first 2 shown]
	v_fma_f64 v[32:33], v[81:82], v[32:33], v[83:84]
	v_fma_f64 v[81:82], v[85:86], v[104:105], v[87:88]
	v_mad_co_u64_u32 v[83:84], null, s8, v117, 0
	v_fma_f64 v[100:101], v[113:114], v[98:99], v[124:125]
	v_fma_f64 v[10:11], v[10:11], v[94:95], -v[89:90]
	v_add_f64_e64 v[16:17], v[30:31], -v[16:17]
	v_add_f64_e64 v[40:41], v[34:35], -v[40:41]
	v_fma_f64 v[14:15], v[14:15], v[98:99], -v[42:43]
	v_fma_f64 v[42:43], v[57:58], v[122:123], v[59:60]
	v_add_nc_u32_e32 v114, 0x6c, v110
	v_fma_f64 v[44:45], v[69:70], v[118:119], v[44:45]
	v_fma_f64 v[24:25], v[24:25], v[73:74], -v[46:47]
	v_add_f64_e64 v[46:47], v[96:97], -v[71:72]
	v_add_f64_e64 v[12:13], v[8:9], -v[12:13]
	v_fma_f64 v[6:7], v[6:7], v[77:78], -v[48:49]
	v_fma_f64 v[0:1], v[0:1], v[61:62], -v[50:51]
	v_mad_co_u64_u32 v[77:78], null, s8, v114, 0
	v_fma_f64 v[28:29], v[53:54], v[120:121], v[28:29]
	v_fma_f64 v[36:37], v[65:66], v[36:37], v[55:56]
	s_wait_dscnt 0x0
	v_add_f64_e64 v[48:49], v[140:141], -v[67:68]
	v_mad_co_u64_u32 v[54:55], null, s8, v110, 0
	v_add_f64_e64 v[38:39], v[75:76], -v[38:39]
	v_add_nc_u32_e32 v118, 0x1b0, v110
	v_add_nc_u32_e32 v120, 0x288, v110
	;; [unrolled: 1-line block ×4, first 2 shown]
	v_mad_co_u64_u32 v[89:90], null, s8, v126, 0
	v_add_nc_u32_e32 v121, 0x2f4, v110
	v_mad_co_u64_u32 v[85:86], null, s8, v118, 0
	v_add_nc_u32_e32 v119, 0x21c, v110
	v_add_f64_e64 v[4:5], v[63:64], -v[4:5]
	v_add_f64_e64 v[2:3], v[22:23], -v[2:3]
	;; [unrolled: 1-line block ×3, first 2 shown]
	v_mad_co_u64_u32 v[93:94], null, s8, v128, 0
	v_add_f64_e64 v[52:53], v[32:33], -v[81:82]
	v_add_nc_u32_e32 v125, 0x4a4, v110
	v_add_f64_e64 v[50:51], v[79:80], -v[100:101]
	v_mad_co_u64_u32 v[81:82], null, s8, v116, 0
	v_fma_f64 v[30:31], v[30:31], 2.0, -v[16:17]
	v_add_f64_e64 v[14:15], v[10:11], -v[14:15]
	v_add_f64_e64 v[44:45], v[42:43], -v[44:45]
	;; [unrolled: 1-line block ×3, first 2 shown]
	v_add_f64_e32 v[60:61], v[40:41], v[12:13]
	v_add_f64_e64 v[6:7], v[24:25], -v[6:7]
	v_add_f64_e64 v[0:1], v[20:21], -v[0:1]
	v_fma_f64 v[8:9], v[8:9], 2.0, -v[12:13]
	v_add_f64_e64 v[36:37], v[28:29], -v[36:37]
	v_fma_f64 v[87:88], v[140:141], 2.0, -v[48:49]
	v_add_f64_e32 v[58:59], v[48:49], v[4:5]
	v_add_f64_e64 v[65:66], v[2:3], -v[38:39]
	v_fma_f64 v[12:13], v[22:23], 2.0, -v[2:3]
	v_fma_f64 v[4:5], v[63:64], 2.0, -v[4:5]
	v_mov_b32_e32 v64, v82
	v_fma_f64 v[22:23], v[32:33], 2.0, -v[52:53]
	v_fma_f64 v[32:33], v[96:97], 2.0, -v[46:47]
	v_add_f64_e64 v[67:68], v[18:19], -v[50:51]
	v_mov_b32_e32 v82, v86
	v_add_f64_e32 v[69:70], v[52:53], v[14:15]
	v_fma_f64 v[10:11], v[10:11], 2.0, -v[14:15]
	v_fma_f64 v[16:17], v[16:17], 2.0, -v[56:57]
	v_mad_co_u64_u32 v[103:104], null, s9, v110, v[55:56]
	v_add_f64_e32 v[71:72], v[44:45], v[6:7]
	v_fma_f64 v[6:7], v[24:25], 2.0, -v[6:7]
	v_fma_f64 v[24:25], v[26:27], 2.0, -v[18:19]
	;; [unrolled: 1-line block ×3, first 2 shown]
	v_add_f64_e64 v[73:74], v[0:1], -v[36:37]
	v_fma_f64 v[28:29], v[28:29], 2.0, -v[36:37]
	v_fma_f64 v[14:15], v[20:21], 2.0, -v[0:1]
	;; [unrolled: 1-line block ×6, first 2 shown]
	v_mov_b32_e32 v55, v78
	v_add_f64_e64 v[8:9], v[30:31], -v[8:9]
	v_mov_b32_e32 v78, v84
	v_mov_b32_e32 v84, v90
	;; [unrolled: 1-line block ×3, first 2 shown]
	v_mad_co_u64_u32 v[114:115], null, s9, v114, v[55:56]
	v_add_nc_u32_e32 v129, 0x654, v110
	v_fma_f64 v[42:43], v[48:49], 2.0, -v[58:59]
	v_fma_f64 v[2:3], v[2:3], 2.0, -v[65:66]
	v_fma_f64 v[95:96], v[60:61], s[2:3], v[58:59]
	v_mad_co_u64_u32 v[50:51], null, s8, v121, 0
	v_mad_co_u64_u32 v[99:100], null, s8, v129, 0
	v_fma_f64 v[18:19], v[18:19], 2.0, -v[67:68]
	v_add_nc_u32_e32 v127, 0x57c, v110
	v_fma_f64 v[101:102], v[67:68], s[2:3], v[65:66]
	v_mad_co_u64_u32 v[75:76], null, s8, v124, 0
	v_fma_f64 v[46:47], v[52:53], 2.0, -v[69:70]
	s_delay_alu instid0(VALU_DEP_4)
	v_mad_co_u64_u32 v[91:92], null, s8, v127, 0
	v_add_nc_u32_e32 v123, 0x3cc, v110
	v_mad_co_u64_u32 v[52:53], null, s8, v122, 0
	v_mad_co_u64_u32 v[79:80], null, s8, v125, 0
	v_fma_f64 v[44:45], v[44:45], 2.0, -v[71:72]
	v_mov_b32_e32 v86, v92
	v_add_f64_e64 v[32:33], v[26:27], -v[32:33]
	v_fma_f64 v[0:1], v[0:1], 2.0, -v[73:74]
	v_add_f64_e64 v[28:29], v[87:88], -v[28:29]
	v_add_f64_e64 v[6:7], v[12:13], -v[6:7]
	;; [unrolled: 1-line block ×6, first 2 shown]
	v_fma_f64 v[97:98], v[69:70], s[2:3], v[71:72]
	v_fma_f64 v[112:113], v[56:57], s[2:3], v[73:74]
	v_fma_f64 v[30:31], v[30:31], 2.0, -v[8:9]
	v_mad_co_u64_u32 v[62:63], null, s8, v123, 0
	v_mad_co_u64_u32 v[38:39], null, s8, v119, 0
	v_mov_b32_e32 v92, v100
	v_fma_f64 v[104:105], v[40:41], s[0:1], v[42:43]
	v_mad_co_u64_u32 v[115:116], null, s9, v116, v[64:65]
	v_fma_f64 v[56:57], v[56:57], s[2:3], v[95:96]
	v_mad_co_u64_u32 v[63:64], null, s9, v123, v[63:64]
	v_mad_co_u64_u32 v[48:49], null, s8, v120, 0
	v_fma_f64 v[106:107], v[18:19], s[0:1], v[2:3]
	v_mov_b32_e32 v55, v103
	v_fma_f64 v[108:109], v[46:47], s[0:1], v[44:45]
	v_fma_f64 v[26:27], v[26:27], 2.0, -v[32:33]
	v_fma_f64 v[110:111], v[16:17], s[0:1], v[0:1]
	v_fma_f64 v[87:88], v[87:88], 2.0, -v[28:29]
	v_fma_f64 v[12:13], v[12:13], 2.0, -v[6:7]
	;; [unrolled: 1-line block ×6, first 2 shown]
	v_fma_f64 v[67:68], v[67:68], s[2:3], v[97:98]
	v_add_f64_e32 v[95:96], v[8:9], v[28:29]
	v_add_f64_e32 v[8:9], v[34:35], v[10:11]
	v_fma_f64 v[10:11], v[69:70], s[0:1], v[101:102]
	v_add_f64_e64 v[36:37], v[6:7], -v[36:37]
	v_fma_f64 v[69:70], v[16:17], s[2:3], v[104:105]
	v_mad_co_u64_u32 v[104:105], null, s9, v121, v[51:52]
	v_fma_f64 v[58:59], v[58:59], 2.0, -v[56:57]
	v_fma_f64 v[16:17], v[46:47], s[0:1], v[106:107]
	v_mad_co_u64_u32 v[105:106], null, s9, v122, v[53:54]
	v_mad_co_u64_u32 v[106:107], null, s9, v124, v[76:77]
	;; [unrolled: 1-line block ×3, first 2 shown]
	v_dual_mov_b32 v78, v114 :: v_dual_mov_b32 v51, v104
	s_delay_alu instid0(VALU_DEP_3)
	v_dual_mov_b32 v53, v105 :: v_dual_mov_b32 v76, v106
	v_fma_f64 v[18:19], v[18:19], s[2:3], v[108:109]
	v_mad_co_u64_u32 v[107:108], null, s9, v125, v[80:81]
	v_fma_f64 v[97:98], v[40:41], s[0:1], v[110:111]
	v_add_f64_e64 v[40:41], v[4:5], -v[32:33]
	v_fma_f64 v[32:33], v[60:61], s[0:1], v[112:113]
	v_mad_co_u64_u32 v[108:109], null, s9, v126, v[84:85]
	v_mad_co_u64_u32 v[109:110], null, s9, v127, v[86:87]
	v_add_f64_e64 v[110:111], v[87:88], -v[26:27]
	v_add_f64_e64 v[24:25], v[12:13], -v[24:25]
	;; [unrolled: 1-line block ×4, first 2 shown]
	v_fma_f64 v[71:72], v[71:72], 2.0, -v[67:68]
	v_fma_f64 v[116:117], v[28:29], 2.0, -v[95:96]
	;; [unrolled: 1-line block ×5, first 2 shown]
	v_mad_co_u64_u32 v[60:61], null, s9, v118, v[82:83]
	v_fma_f64 v[28:29], v[6:7], 2.0, -v[36:37]
	v_mov_b32_e32 v80, v107
	v_mov_b32_e32 v82, v115
	;; [unrolled: 1-line block ×3, first 2 shown]
	v_fma_f64 v[46:47], v[8:9], s[2:3], v[95:96]
	v_fma_f64 v[30:31], v[2:3], 2.0, -v[16:17]
	v_mov_b32_e32 v86, v60
	v_lshlrev_b64_e32 v[81:82], 4, v[81:82]
	v_lshlrev_b64_e32 v[83:84], 4, v[83:84]
	;; [unrolled: 1-line block ×6, first 2 shown]
	v_fma_f64 v[42:43], v[44:45], 2.0, -v[18:19]
	v_fma_f64 v[60:61], v[18:19], s[4:5], v[69:70]
	v_fma_f64 v[44:45], v[0:1], 2.0, -v[97:98]
	v_mad_co_u64_u32 v[100:101], null, s9, v119, v[39:40]
	v_fma_f64 v[118:119], v[4:5], 2.0, -v[40:41]
	v_fma_f64 v[73:74], v[73:74], 2.0, -v[32:33]
	v_mad_co_u64_u32 v[0:1], null, s9, v128, v[90:91]
	v_mad_co_u64_u32 v[101:102], null, s9, v120, v[49:50]
	;; [unrolled: 1-line block ×3, first 2 shown]
	v_dual_mov_b32 v39, v100 :: v_dual_mov_b32 v90, v108
	s_delay_alu instid0(VALU_DEP_4)
	v_mov_b32_e32 v94, v0
	v_fma_f64 v[4:5], v[67:68], s[6:7], v[56:57]
	v_mov_b32_e32 v49, v101
	v_fma_f64 v[101:102], v[71:72], s[12:13], v[58:59]
	v_mov_b32_e32 v100, v1
	v_lshlrev_b64_e32 v[0:1], 4, v[77:78]
	v_fma_f64 v[77:78], v[16:17], s[4:5], v[97:98]
	v_fma_f64 v[87:88], v[87:88], 2.0, -v[110:111]
	v_fma_f64 v[20:21], v[20:21], 2.0, -v[22:23]
	;; [unrolled: 1-line block ×4, first 2 shown]
	v_lshlrev_b64_e32 v[2:3], 4, v[54:55]
	v_fma_f64 v[54:55], v[36:37], s[2:3], v[40:41]
	v_fma_f64 v[103:104], v[34:35], s[0:1], v[116:117]
	;; [unrolled: 1-line block ×3, first 2 shown]
	v_lshlrev_b64_e32 v[38:39], 4, v[38:39]
	v_lshlrev_b64_e32 v[48:49], 4, v[48:49]
	v_add_co_u32 v130, vcc_lo, v134, v2
	s_wait_alu 0xfffd
	v_add_co_ci_u32_e32 v131, vcc_lo, v135, v3, vcc_lo
	v_add_co_u32 v132, vcc_lo, v134, v0
	v_fma_f64 v[114:115], v[42:43], s[14:15], v[64:65]
	v_fma_f64 v[14:15], v[16:17], s[6:7], v[60:61]
	;; [unrolled: 1-line block ×3, first 2 shown]
	s_wait_alu 0xfffd
	v_add_co_ci_u32_e32 v133, vcc_lo, v135, v1, vcc_lo
	v_fma_f64 v[122:123], v[28:29], s[0:1], v[118:119]
	v_fma_f64 v[124:125], v[26:27], s[12:13], v[73:74]
	v_add_co_u32 v66, vcc_lo, v134, v81
	v_lshlrev_b64_e32 v[50:51], 4, v[50:51]
	v_lshlrev_b64_e32 v[128:129], 4, v[62:63]
	v_mov_b32_e32 v92, v109
	v_lshlrev_b64_e32 v[89:90], 4, v[89:90]
	v_lshlrev_b64_e32 v[93:94], 4, v[93:94]
	;; [unrolled: 1-line block ×3, first 2 shown]
	v_fma_f64 v[2:3], v[10:11], s[4:5], v[4:5]
	v_add_f64_e32 v[10:11], v[110:111], v[24:25]
	v_lshlrev_b64_e32 v[91:92], 4, v[91:92]
	v_fma_f64 v[12:13], v[18:19], s[14:15], v[77:78]
	v_fma_f64 v[18:19], v[26:27], s[6:7], v[101:102]
	v_add_f64_e64 v[26:27], v[87:88], -v[20:21]
	v_add_f64_e64 v[24:25], v[105:106], -v[107:108]
	v_fma_f64 v[4:5], v[8:9], s[0:1], v[54:55]
	v_add_f64_e64 v[8:9], v[112:113], -v[22:23]
	v_fma_f64 v[22:23], v[28:29], s[2:3], v[103:104]
	v_fma_f64 v[0:1], v[67:68], s[12:13], v[6:7]
	;; [unrolled: 1-line block ×3, first 2 shown]
	s_wait_alu 0xfffd
	v_add_co_ci_u32_e32 v67, vcc_lo, v135, v82, vcc_lo
	v_fma_f64 v[30:31], v[30:31], s[4:5], v[114:115]
	v_fma_f64 v[62:63], v[69:70], 2.0, -v[14:15]
	v_fma_f64 v[28:29], v[42:43], s[12:13], v[120:121]
	v_fma_f64 v[20:21], v[34:35], s[0:1], v[122:123]
	;; [unrolled: 1-line block ×3, first 2 shown]
	v_add_co_u32 v71, vcc_lo, v134, v83
	s_wait_alu 0xfffd
	v_add_co_ci_u32_e32 v72, vcc_lo, v135, v84, vcc_lo
	v_add_co_u32 v77, vcc_lo, v134, v85
	s_wait_alu 0xfffd
	v_add_co_ci_u32_e32 v78, vcc_lo, v135, v86, vcc_lo
	;; [unrolled: 3-line block ×4, first 2 shown]
	v_add_co_u32 v85, vcc_lo, v134, v50
	v_fma_f64 v[54:55], v[87:88], 2.0, -v[26:27]
	v_fma_f64 v[52:53], v[105:106], 2.0, -v[24:25]
	;; [unrolled: 1-line block ×4, first 2 shown]
	s_wait_alu 0xfffd
	v_add_co_ci_u32_e32 v86, vcc_lo, v135, v51, vcc_lo
	v_fma_f64 v[50:51], v[116:117], 2.0, -v[22:23]
	v_fma_f64 v[36:37], v[40:41], 2.0, -v[4:5]
	;; [unrolled: 1-line block ×8, first 2 shown]
	v_add_co_u32 v64, vcc_lo, v134, v126
	v_fma_f64 v[56:57], v[44:45], 2.0, -v[28:29]
	s_wait_alu 0xfffd
	v_add_co_ci_u32_e32 v65, vcc_lo, v135, v127, vcc_lo
	v_fma_f64 v[48:49], v[118:119], 2.0, -v[20:21]
	v_fma_f64 v[44:45], v[73:74], 2.0, -v[16:17]
	v_add_co_u32 v68, vcc_lo, v134, v128
	s_wait_alu 0xfffd
	v_add_co_ci_u32_e32 v69, vcc_lo, v135, v129, vcc_lo
	v_add_co_u32 v73, vcc_lo, v134, v75
	s_wait_alu 0xfffd
	v_add_co_ci_u32_e32 v74, vcc_lo, v135, v76, vcc_lo
	;; [unrolled: 3-line block ×7, first 2 shown]
	s_clause 0xf
	global_store_b128 v[130:131], v[52:55], off
	global_store_b128 v[132:133], v[56:59], off
	;; [unrolled: 1-line block ×16, first 2 shown]
.LBB0_37:
	s_nop 0
	s_sendmsg sendmsg(MSG_DEALLOC_VGPRS)
	s_endpgm
	.section	.rodata,"a",@progbits
	.p2align	6, 0x0
	.amdhsa_kernel fft_rtc_fwd_len1728_factors_3_6_6_16_wgs_108_tpt_108_halfLds_dp_ip_CI_sbrr_dirReg
		.amdhsa_group_segment_fixed_size 0
		.amdhsa_private_segment_fixed_size 0
		.amdhsa_kernarg_size 88
		.amdhsa_user_sgpr_count 2
		.amdhsa_user_sgpr_dispatch_ptr 0
		.amdhsa_user_sgpr_queue_ptr 0
		.amdhsa_user_sgpr_kernarg_segment_ptr 1
		.amdhsa_user_sgpr_dispatch_id 0
		.amdhsa_user_sgpr_private_segment_size 0
		.amdhsa_wavefront_size32 1
		.amdhsa_uses_dynamic_stack 0
		.amdhsa_enable_private_segment 0
		.amdhsa_system_sgpr_workgroup_id_x 1
		.amdhsa_system_sgpr_workgroup_id_y 0
		.amdhsa_system_sgpr_workgroup_id_z 0
		.amdhsa_system_sgpr_workgroup_info 0
		.amdhsa_system_vgpr_workitem_id 0
		.amdhsa_next_free_vgpr 171
		.amdhsa_next_free_sgpr 35
		.amdhsa_reserve_vcc 1
		.amdhsa_float_round_mode_32 0
		.amdhsa_float_round_mode_16_64 0
		.amdhsa_float_denorm_mode_32 3
		.amdhsa_float_denorm_mode_16_64 3
		.amdhsa_fp16_overflow 0
		.amdhsa_workgroup_processor_mode 1
		.amdhsa_memory_ordered 1
		.amdhsa_forward_progress 0
		.amdhsa_round_robin_scheduling 0
		.amdhsa_exception_fp_ieee_invalid_op 0
		.amdhsa_exception_fp_denorm_src 0
		.amdhsa_exception_fp_ieee_div_zero 0
		.amdhsa_exception_fp_ieee_overflow 0
		.amdhsa_exception_fp_ieee_underflow 0
		.amdhsa_exception_fp_ieee_inexact 0
		.amdhsa_exception_int_div_zero 0
	.end_amdhsa_kernel
	.text
.Lfunc_end0:
	.size	fft_rtc_fwd_len1728_factors_3_6_6_16_wgs_108_tpt_108_halfLds_dp_ip_CI_sbrr_dirReg, .Lfunc_end0-fft_rtc_fwd_len1728_factors_3_6_6_16_wgs_108_tpt_108_halfLds_dp_ip_CI_sbrr_dirReg
                                        ; -- End function
	.section	.AMDGPU.csdata,"",@progbits
; Kernel info:
; codeLenInByte = 11888
; NumSgprs: 37
; NumVgprs: 171
; ScratchSize: 0
; MemoryBound: 1
; FloatMode: 240
; IeeeMode: 1
; LDSByteSize: 0 bytes/workgroup (compile time only)
; SGPRBlocks: 4
; VGPRBlocks: 21
; NumSGPRsForWavesPerEU: 37
; NumVGPRsForWavesPerEU: 171
; Occupancy: 8
; WaveLimiterHint : 1
; COMPUTE_PGM_RSRC2:SCRATCH_EN: 0
; COMPUTE_PGM_RSRC2:USER_SGPR: 2
; COMPUTE_PGM_RSRC2:TRAP_HANDLER: 0
; COMPUTE_PGM_RSRC2:TGID_X_EN: 1
; COMPUTE_PGM_RSRC2:TGID_Y_EN: 0
; COMPUTE_PGM_RSRC2:TGID_Z_EN: 0
; COMPUTE_PGM_RSRC2:TIDIG_COMP_CNT: 0
	.text
	.p2alignl 7, 3214868480
	.fill 96, 4, 3214868480
	.type	__hip_cuid_200896e4c2882225,@object ; @__hip_cuid_200896e4c2882225
	.section	.bss,"aw",@nobits
	.globl	__hip_cuid_200896e4c2882225
__hip_cuid_200896e4c2882225:
	.byte	0                               ; 0x0
	.size	__hip_cuid_200896e4c2882225, 1

	.ident	"AMD clang version 19.0.0git (https://github.com/RadeonOpenCompute/llvm-project roc-6.4.0 25133 c7fe45cf4b819c5991fe208aaa96edf142730f1d)"
	.section	".note.GNU-stack","",@progbits
	.addrsig
	.addrsig_sym __hip_cuid_200896e4c2882225
	.amdgpu_metadata
---
amdhsa.kernels:
  - .args:
      - .actual_access:  read_only
        .address_space:  global
        .offset:         0
        .size:           8
        .value_kind:     global_buffer
      - .offset:         8
        .size:           8
        .value_kind:     by_value
      - .actual_access:  read_only
        .address_space:  global
        .offset:         16
        .size:           8
        .value_kind:     global_buffer
      - .actual_access:  read_only
        .address_space:  global
        .offset:         24
        .size:           8
        .value_kind:     global_buffer
      - .offset:         32
        .size:           8
        .value_kind:     by_value
      - .actual_access:  read_only
        .address_space:  global
        .offset:         40
        .size:           8
        .value_kind:     global_buffer
      - .actual_access:  read_only
        .address_space:  global
        .offset:         48
        .size:           8
        .value_kind:     global_buffer
      - .offset:         56
        .size:           4
        .value_kind:     by_value
      - .actual_access:  read_only
        .address_space:  global
        .offset:         64
        .size:           8
        .value_kind:     global_buffer
      - .actual_access:  read_only
        .address_space:  global
        .offset:         72
        .size:           8
        .value_kind:     global_buffer
      - .address_space:  global
        .offset:         80
        .size:           8
        .value_kind:     global_buffer
    .group_segment_fixed_size: 0
    .kernarg_segment_align: 8
    .kernarg_segment_size: 88
    .language:       OpenCL C
    .language_version:
      - 2
      - 0
    .max_flat_workgroup_size: 108
    .name:           fft_rtc_fwd_len1728_factors_3_6_6_16_wgs_108_tpt_108_halfLds_dp_ip_CI_sbrr_dirReg
    .private_segment_fixed_size: 0
    .sgpr_count:     37
    .sgpr_spill_count: 0
    .symbol:         fft_rtc_fwd_len1728_factors_3_6_6_16_wgs_108_tpt_108_halfLds_dp_ip_CI_sbrr_dirReg.kd
    .uniform_work_group_size: 1
    .uses_dynamic_stack: false
    .vgpr_count:     171
    .vgpr_spill_count: 0
    .wavefront_size: 32
    .workgroup_processor_mode: 1
amdhsa.target:   amdgcn-amd-amdhsa--gfx1201
amdhsa.version:
  - 1
  - 2
...

	.end_amdgpu_metadata
